;; amdgpu-corpus repo=UoB-HPC/miniBUDE kind=compiled arch=gfx1030 opt=O3
	.amdgcn_target "amdgcn-amd-amdhsa--gfx1030"
	.amdhsa_code_object_version 6
	.section	.text._ZL11fasten_mainILm1EEviiPK4AtomS2_PKfS4_S4_S4_S4_S4_PfPK8FFParamsi,"axG",@progbits,_ZL11fasten_mainILm1EEviiPK4AtomS2_PKfS4_S4_S4_S4_S4_PfPK8FFParamsi,comdat
	.globl	_ZL11fasten_mainILm1EEviiPK4AtomS2_PKfS4_S4_S4_S4_S4_PfPK8FFParamsi ; -- Begin function _ZL11fasten_mainILm1EEviiPK4AtomS2_PKfS4_S4_S4_S4_S4_PfPK8FFParamsi
	.p2align	8
	.type	_ZL11fasten_mainILm1EEviiPK4AtomS2_PKfS4_S4_S4_S4_S4_PfPK8FFParamsi,@function
_ZL11fasten_mainILm1EEviiPK4AtomS2_PKfS4_S4_S4_S4_S4_PfPK8FFParamsi: ; @_ZL11fasten_mainILm1EEviiPK4AtomS2_PKfS4_S4_S4_S4_S4_PfPK8FFParamsi
; %bb.0:
	s_clause 0x2
	s_load_dword s0, s[4:5], 0x6c
	s_load_dword s1, s[4:5], 0x58
	s_load_dwordx16 s[12:27], s[4:5], 0x8
	s_mov_b32 s8, 0xb94c1982
	s_mov_b32 s9, 0x37d75334
	s_waitcnt lgkmcnt(0)
	s_and_b32 s0, s0, 0xffff
	s_add_i32 s2, s1, -1
	v_mad_u64_u32 v[4:5], null, s6, s0, v[0:1]
	v_cmp_gt_i32_e64 s0, s1, v4
	s_mov_b32 s1, 0x7fffff
	v_cndmask_b32_e64 v0, s2, v4, s0
	s_load_dwordx2 s[2:3], s[4:5], 0x0
	v_ashrrev_i32_e32 v1, 31, v0
	v_lshlrev_b64 v[0:1], 2, v[0:1]
	v_add_co_u32 v2, vcc_lo, s16, v0
	v_add_co_ci_u32_e64 v3, null, s17, v1, vcc_lo
	s_waitcnt lgkmcnt(0)
	s_max_i32 s28, s2, 1
	s_max_i32 s11, s3, 1
	global_load_dword v7, v[2:3], off
	v_add_co_u32 v2, vcc_lo, s18, v0
	v_add_co_ci_u32_e64 v3, null, s19, v1, vcc_lo
	v_add_co_u32 v5, vcc_lo, s20, v0
	v_add_co_ci_u32_e64 v6, null, s21, v1, vcc_lo
	global_load_dword v11, v[2:3], off
	global_load_dword v12, v[5:6], off
	v_mov_b32_e32 v6, 0
	v_add_co_u32 v8, vcc_lo, s22, v0
	v_add_co_ci_u32_e64 v9, null, s23, v1, vcc_lo
	v_add_co_u32 v15, vcc_lo, s24, v0
	v_add_co_ci_u32_e64 v16, null, s25, v1, vcc_lo
	v_add_co_u32 v0, vcc_lo, s26, v0
	v_add_co_ci_u32_e64 v1, null, s27, v1, vcc_lo
	global_load_dword v8, v[8:9], off
	global_load_dword v9, v[15:16], off
	s_load_dwordx4 s[16:19], s[4:5], 0x48
	s_mov_b32 s21, 0
	global_load_dword v10, v[0:1], off
	s_add_u32 s12, s12, 8
	s_addc_u32 s13, s13, 0
	s_mov_b32 s20, s21
	s_waitcnt vmcnt(5)
	v_and_b32_e32 v13, 0x7fffffff, v7
	v_and_or_b32 v14, v13, s1, 0x800000
	v_lshrrev_b32_e32 v17, 23, v13
	s_waitcnt vmcnt(4)
	v_and_b32_e32 v1, 0x7fffffff, v11
	v_mad_u64_u32 v[2:3], null, 0xfe5163ab, v14, 0
	s_waitcnt vmcnt(3)
	v_and_b32_e32 v0, 0x7fffffff, v12
	v_add_nc_u32_e32 v30, 0xffffff88, v17
	v_and_or_b32 v33, v1, s1, 0x800000
	v_mul_f32_e64 v16, 0x3f22f983, |v12|
	v_mul_f32_e64 v15, 0x3f22f983, |v11|
	v_lshrrev_b32_e32 v25, 23, v0
	v_mov_b32_e32 v5, v3
	v_mul_f32_e64 v3, 0x3f22f983, |v7|
	v_cmp_lt_u32_e32 vcc_lo, 63, v30
	v_and_or_b32 v34, v0, s1, 0x800000
	v_add_nc_u32_e32 v38, 0xffffff88, v25
	v_mad_u64_u32 v[18:19], null, 0x3c439041, v14, v[5:6]
	v_rndne_f32_e32 v29, v3
	v_lshrrev_b32_e32 v3, 23, v1
	v_cmp_lt_u32_e64 s2, 63, v38
	v_rndne_f32_e32 v35, v16
	v_rndne_f32_e32 v32, v15
	v_fma_f32 v36, 0xbfc90fda, v29, |v7|
	v_mov_b32_e32 v5, v19
	v_add_nc_u32_e32 v31, 0xffffff88, v3
	v_cndmask_b32_e64 v40, 0, 0xffffffc0, s2
	v_cvt_i32_f32_e32 v37, v29
	v_fmac_f32_e32 v36, 0xb3a22168, v29
	v_mad_u64_u32 v[19:20], null, 0xdb629599, v14, v[5:6]
	v_cmp_lt_u32_e64 s1, 63, v31
	v_add_nc_u32_e32 v38, v40, v38
	v_fmac_f32_e32 v36, 0xa7c234c4, v29
	v_fma_f32 v17, 0xbfc90fda, v35, |v12|
	v_fma_f32 v16, 0xbfc90fda, v32, |v11|
	v_cndmask_b32_e64 v39, 0, 0xffffffc0, s1
	v_mov_b32_e32 v5, v20
	v_cmp_lt_u32_e64 s5, 31, v38
	v_fmac_f32_e32 v17, 0xb3a22168, v35
	v_cvt_i32_f32_e32 v3, v35
	v_add_nc_u32_e32 v39, v39, v31
	v_mad_u64_u32 v[20:21], null, 0xf534ddc0, v14, v[5:6]
	v_fmac_f32_e32 v16, 0xb3a22168, v32
	v_fmac_f32_e32 v17, 0xa7c234c4, v35
	v_cmp_lt_u32_e64 s4, 31, v39
	v_cvt_i32_f32_e32 v15, v32
	v_cndmask_b32_e32 v2, v19, v2, vcc_lo
	v_fmac_f32_e32 v16, 0xa7c234c4, v32
	v_mov_b32_e32 v5, v21
	v_mad_u64_u32 v[21:22], null, 0xfe5163ab, v33, 0
	v_cndmask_b32_e32 v18, v20, v18, vcc_lo
	v_mad_u64_u32 v[25:26], null, 0xfe5163ab, v34, 0
	v_mad_u64_u32 v[23:24], null, 0xfc2757d1, v14, v[5:6]
	v_mov_b32_e32 v5, v24
	v_cndmask_b32_e64 v24, 0, 0xffffffc0, vcc_lo
	v_mad_u64_u32 v[27:28], null, 0x4e441529, v14, v[5:6]
	v_add_nc_u32_e32 v24, v24, v30
	v_cmp_lt_u32_e64 s3, 31, v24
	v_mov_b32_e32 v5, v28
	v_cndmask_b32_e64 v2, v18, v2, s3
	v_mad_u64_u32 v[28:29], null, 0xa2f9836e, v14, v[5:6]
	v_mov_b32_e32 v5, v22
	v_cndmask_b32_e64 v14, 0, 0xffffffe0, s3
	v_cndmask_b32_e64 v22, 0, 0xffffffe0, s4
	v_mad_u64_u32 v[30:31], null, 0x3c439041, v33, v[5:6]
	v_cndmask_b32_e64 v5, 0, 0xffffffe0, s5
	v_add_nc_u32_e32 v14, v14, v24
	v_add_nc_u32_e32 v24, v22, v39
	v_cndmask_b32_e32 v28, v28, v23, vcc_lo
	v_add_nc_u32_e32 v35, v5, v38
	v_mov_b32_e32 v5, v31
	v_cmp_lt_u32_e64 s6, 31, v14
	v_cndmask_b32_e32 v38, v27, v20, vcc_lo
	v_cndmask_b32_e32 v20, v23, v19, vcc_lo
	v_cmp_lt_u32_e64 s7, 31, v35
	v_mad_u64_u32 v[31:32], null, 0xdb629599, v33, v[5:6]
	v_cndmask_b32_e64 v22, 0, 0xffffffe0, s6
	v_cndmask_b32_e32 v5, v29, v27, vcc_lo
	v_cndmask_b32_e64 v27, v28, v38, s3
	v_cndmask_b32_e64 v29, v38, v20, s3
	;; [unrolled: 1-line block ×3, first 2 shown]
	v_add_nc_u32_e32 v14, v22, v14
	v_cndmask_b32_e64 v22, v5, v28, s3
	v_mov_b32_e32 v5, v32
	v_cmp_lt_u32_e32 vcc_lo, 31, v24
	v_cndmask_b32_e64 v2, v20, v2, s6
	v_sub_nc_u32_e32 v28, 32, v14
	v_cndmask_b32_e64 v32, v22, v27, s6
	v_mad_u64_u32 v[22:23], null, 0xf534ddc0, v33, v[5:6]
	v_cndmask_b32_e64 v27, v27, v29, s6
	v_cmp_eq_u32_e64 s3, 0, v14
	v_cndmask_b32_e64 v29, v29, v20, s6
	v_cndmask_b32_e64 v38, 0, 0xffffffe0, vcc_lo
	v_alignbit_b32 v19, v32, v27, v28
	v_mov_b32_e32 v5, v23
	v_alignbit_b32 v23, v27, v29, v28
	v_alignbit_b32 v28, v29, v2, v28
	v_cndmask_b32_e64 v30, v22, v30, s1
	v_cndmask_b32_e64 v14, v19, v32, s3
	v_mad_u64_u32 v[18:19], null, 0xfc2757d1, v33, v[5:6]
	v_cndmask_b32_e64 v5, 0, 0xffffffe0, s7
	v_cndmask_b32_e64 v23, v23, v27, s3
	v_add_nc_u32_e32 v32, v38, v24
	v_bfe_u32 v38, v14, 29, 1
	v_lshrrev_b32_e32 v41, 29, v14
	v_add_nc_u32_e32 v35, v5, v35
	v_mov_b32_e32 v5, v19
	v_alignbit_b32 v24, v14, v23, 30
	v_sub_nc_u32_e32 v27, 0, v38
	v_sub_nc_u32_e32 v39, 32, v32
	v_lshrrev_b32_e32 v14, 30, v14
	v_mad_u64_u32 v[19:20], null, 0x4e441529, v33, v[5:6]
	v_xor_b32_e32 v40, v24, v27
	v_cndmask_b32_e64 v24, v28, v29, s3
	v_cndmask_b32_e64 v28, v31, v21, s1
	v_sub_nc_u32_e32 v29, 32, v35
	v_add_nc_u32_e32 v14, v38, v14
	v_ffbh_u32_e32 v21, v40
	v_mov_b32_e32 v5, v20
	v_alignbit_b32 v23, v23, v24, 30
	v_alignbit_b32 v2, v24, v2, 30
	v_cndmask_b32_e64 v28, v30, v28, s4
	v_min_u32_e32 v42, 32, v21
	v_mad_u64_u32 v[20:21], null, 0xa2f9836e, v33, v[5:6]
	v_mov_b32_e32 v5, v26
	v_xor_b32_e32 v33, v23, v27
	v_lshlrev_b32_e32 v26, 31, v41
	v_sub_nc_u32_e32 v41, 31, v42
	v_xor_b32_e32 v2, v2, v27
	v_mad_u64_u32 v[23:24], null, 0x3c439041, v34, v[5:6]
	v_or_b32_e32 v43, 0x33000000, v26
	v_or_b32_e32 v44, 0.5, v26
	v_alignbit_b32 v40, v40, v33, v41
	v_alignbit_b32 v2, v33, v2, v41
	v_cndmask_b32_e64 v22, v19, v22, s1
	v_mov_b32_e32 v5, v24
	v_cndmask_b32_e64 v24, v18, v31, s1
	v_lshlrev_b32_e32 v31, 23, v42
	v_alignbit_b32 v33, v40, v2, 9
	v_lshrrev_b32_e32 v40, 9, v40
	v_mad_u64_u32 v[26:27], null, 0xdb629599, v34, v[5:6]
	v_cndmask_b32_e64 v30, v24, v30, s4
	v_sub_nc_u32_e32 v31, v44, v31
	v_ffbh_u32_e32 v41, v33
	v_cndmask_b32_e64 v18, v20, v18, s1
	v_cndmask_b32_e64 v24, v22, v24, s4
	v_cndmask_b32_e32 v44, v30, v28, vcc_lo
	v_mov_b32_e32 v5, v27
	v_or_b32_e32 v31, v40, v31
	v_min_u32_e32 v40, 32, v41
	v_cndmask_b32_e64 v20, v18, v22, s4
	v_cndmask_b32_e64 v25, v26, v25, s2
	v_mad_u64_u32 v[27:28], null, 0xf534ddc0, v34, v[5:6]
	v_cndmask_b32_e64 v5, v21, v19, s1
	v_not_b32_e32 v19, v40
	v_add_lshl_u32 v22, v40, v42, 23
	v_cndmask_b32_e32 v21, v24, v30, vcc_lo
	v_mul_f32_e32 v30, 0x3fc90fda, v31
	v_cndmask_b32_e64 v18, v5, v18, s4
	v_mov_b32_e32 v5, v28
	v_alignbit_b32 v2, v33, v2, v19
	v_cndmask_b32_e32 v24, v20, v24, vcc_lo
	v_fma_f32 v28, 0x3fc90fda, v31, -v30
	v_cndmask_b32_e32 v33, v18, v20, vcc_lo
	v_mad_u64_u32 v[18:19], null, 0xfc2757d1, v34, v[5:6]
	v_sub_nc_u32_e32 v20, v43, v22
	v_lshrrev_b32_e32 v2, 9, v2
	v_alignbit_b32 v40, v21, v44, v39
	v_fmac_f32_e32 v28, 0x33a22168, v31
	v_alignbit_b32 v22, v33, v24, v39
	v_cmp_eq_u32_e32 vcc_lo, 0, v32
	v_mov_b32_e32 v5, v19
	v_or_b32_e32 v2, v20, v2
	v_alignbit_b32 v31, v24, v21, v39
	v_cndmask_b32_e64 v23, v27, v23, s2
	v_cndmask_b32_e32 v22, v22, v33, vcc_lo
	v_mad_u64_u32 v[19:20], null, 0x4e441529, v34, v[5:6]
	v_cndmask_b32_e32 v24, v31, v24, vcc_lo
	v_cndmask_b32_e32 v21, v40, v21, vcc_lo
	v_fmac_f32_e32 v28, 0x3fc90fda, v2
	v_bfe_u32 v32, v22, 29, 1
	v_lshrrev_b32_e32 v31, 29, v22
	v_alignbit_b32 v2, v22, v24, 30
	v_mov_b32_e32 v5, v20
	v_alignbit_b32 v24, v24, v21, 30
	v_alignbit_b32 v33, v21, v44, 30
	v_cndmask_b32_e64 v27, v19, v27, s2
	v_cmp_gt_f32_e64 vcc_lo, 0x48000000, |v7|
	v_mad_u64_u32 v[20:21], null, 0xa2f9836e, v34, v[5:6]
	v_lshrrev_b32_e32 v5, 30, v22
	v_add_f32_e32 v22, v30, v28
	v_sub_nc_u32_e32 v28, 0, v32
	v_lshlrev_b32_e32 v30, 31, v31
	v_cndmask_b32_e32 v14, v14, v37, vcc_lo
	v_add_nc_u32_e32 v5, v32, v5
	v_cndmask_b32_e64 v20, v20, v18, s2
	v_cndmask_b32_e64 v19, v21, v19, s2
	;; [unrolled: 1-line block ×3, first 2 shown]
	v_xor_b32_e32 v21, v24, v28
	v_xor_b32_e32 v2, v2, v28
	v_cndmask_b32_e64 v24, v20, v27, s5
	v_cndmask_b32_e64 v19, v19, v20, s5
	;; [unrolled: 1-line block ×4, first 2 shown]
	v_xor_b32_e32 v26, v33, v28
	v_or_b32_e32 v27, 0x33000000, v30
	v_cndmask_b32_e64 v19, v19, v24, s7
	v_cndmask_b32_e64 v24, v24, v20, s7
	v_or_b32_e32 v28, 0.5, v30
	v_cndmask_b32_e32 v22, v22, v36, vcc_lo
	v_cndmask_b32_e64 v20, v20, v18, s7
	v_cmp_eq_u32_e32 vcc_lo, 0, v35
	v_alignbit_b32 v30, v19, v24, v29
	v_cndmask_b32_e64 v23, v23, v25, s5
	v_ffbh_u32_e32 v25, v2
	v_alignbit_b32 v31, v24, v20, v29
	v_and_b32_e32 v33, 1, v14
	v_cndmask_b32_e32 v19, v30, v19, vcc_lo
	v_cndmask_b32_e64 v18, v18, v23, s7
	v_mul_f32_e32 v30, v22, v22
	v_cndmask_b32_e32 v24, v31, v24, vcc_lo
	v_min_u32_e32 v25, 32, v25
	v_bfe_u32 v31, v19, 29, 1
	v_alignbit_b32 v29, v20, v18, v29
	v_fmaak_f32 v34, s8, v30, 0x3c0881c4
	v_alignbit_b32 v23, v19, v24, 30
	v_sub_nc_u32_e32 v37, 31, v25
	v_sub_nc_u32_e32 v35, 0, v31
	v_lshlrev_b32_e32 v38, 23, v25
	v_cndmask_b32_e32 v20, v29, v20, vcc_lo
	v_fmaak_f32 v36, s9, v30, 0xbab64f3b
	v_fmaak_f32 v34, v30, v34, 0xbe2aaa9d
	v_xor_b32_e32 v23, v23, v35
	v_alignbit_b32 v2, v2, v21, v37
	v_alignbit_b32 v21, v21, v26, v37
	v_sub_nc_u32_e32 v26, v28, v38
	v_alignbit_b32 v24, v24, v20, 30
	v_ffbh_u32_e32 v29, v23
	v_alignbit_b32 v18, v20, v18, 30
	v_fmaak_f32 v36, v30, v36, 0x3d2aabf7
	v_mul_f32_e32 v20, v30, v34
	v_xor_b32_e32 v24, v24, v35
	v_min_u32_e32 v28, 32, v29
	v_xor_b32_e32 v18, v18, v35
	v_fmaak_f32 v29, v30, v36, 0xbf000004
	v_lshrrev_b32_e32 v35, 29, v19
	v_alignbit_b32 v36, v2, v21, 9
	v_sub_nc_u32_e32 v34, 31, v28
	v_lshrrev_b32_e32 v2, 9, v2
	v_fmac_f32_e32 v22, v22, v20
	v_fma_f32 v29, v30, v29, 1.0
	v_ffbh_u32_e32 v20, v36
	v_alignbit_b32 v23, v23, v24, v34
	v_alignbit_b32 v18, v24, v18, v34
	v_lshlrev_b32_e32 v24, 31, v35
	v_or_b32_e32 v2, v2, v26
	v_lshlrev_b32_e32 v35, 23, v28
	v_min_u32_e32 v20, 32, v20
	v_alignbit_b32 v26, v23, v18, 9
	v_or_b32_e32 v34, 0.5, v24
	v_lshrrev_b32_e32 v23, 9, v23
	v_mul_f32_e32 v37, 0x3fc90fda, v2
	v_or_b32_e32 v24, 0x33000000, v24
	v_ffbh_u32_e32 v30, v26
	v_sub_nc_u32_e32 v34, v34, v35
	v_not_b32_e32 v35, v20
	v_add_lshl_u32 v20, v20, v25, 23
	v_fma_f32 v25, 0x3fc90fda, v2, -v37
	v_min_u32_e32 v30, 32, v30
	v_or_b32_e32 v23, v23, v34
	v_alignbit_b32 v21, v36, v21, v35
	v_sub_nc_u32_e32 v20, v27, v20
	v_fmac_f32_e32 v25, 0x33a22168, v2
	v_not_b32_e32 v34, v30
	v_mul_f32_e32 v27, 0x3fc90fda, v23
	v_add_lshl_u32 v28, v30, v28, 23
	v_lshrrev_b32_e32 v21, 9, v21
	v_cmp_eq_u32_e32 vcc_lo, 0, v33
	v_alignbit_b32 v18, v26, v18, v34
	v_fma_f32 v2, 0x3fc90fda, v23, -v27
	v_sub_nc_u32_e32 v24, v24, v28
	v_or_b32_e32 v20, v20, v21
	v_lshlrev_b32_e32 v14, 30, v14
	v_lshrrev_b32_e32 v18, 9, v18
	v_cndmask_b32_e32 v21, v29, v22, vcc_lo
	v_fmac_f32_e32 v2, 0x33a22168, v23
	v_fmac_f32_e32 v25, 0x3fc90fda, v20
	v_and_b32_e32 v14, 0x80000000, v14
	v_or_b32_e32 v18, v24, v18
	v_cndmask_b32_e64 v20, -v22, v29, vcc_lo
	v_xor_b32_e32 v21, v7, v21
	v_cmp_gt_f32_e64 vcc_lo, 0x48000000, |v11|
	v_cmp_class_f32_e64 s1, v7, 0x1f8
	v_fmac_f32_e32 v2, 0x3fc90fda, v18
	v_add_f32_e32 v18, v37, v25
	v_xor_b32_e32 v20, v14, v20
	v_xor3_b32 v13, v21, v13, v14
	v_cndmask_b32_e32 v5, v5, v15, vcc_lo
	v_add_f32_e32 v2, v27, v2
	v_cndmask_b32_e32 v14, v18, v16, vcc_lo
	v_cmp_gt_f32_e64 vcc_lo, 0x48000000, |v12|
	v_lshrrev_b32_e32 v16, 30, v19
	v_cndmask_b32_e64 v13, 0x7fc00000, v13, s1
	v_mul_f32_e32 v15, v14, v14
	v_cndmask_b32_e32 v2, v2, v17, vcc_lo
	v_add_nc_u32_e32 v7, v31, v16
	v_and_b32_e32 v17, 1, v5
	v_lshlrev_b32_e32 v5, 30, v5
	v_fmaak_f32 v18, s8, v15, 0x3c0881c4
	v_mul_f32_e32 v16, v2, v2
	v_fmaak_f32 v19, s9, v15, 0xbab64f3b
	v_cndmask_b32_e32 v3, v7, v3, vcc_lo
	v_cmp_eq_u32_e32 vcc_lo, 0, v17
	v_fmaak_f32 v18, v15, v18, 0xbe2aaa9d
	v_fmaak_f32 v21, s8, v16, 0x3c0881c4
	;; [unrolled: 1-line block ×4, first 2 shown]
	v_and_b32_e32 v5, 0x80000000, v5
	v_mul_f32_e32 v18, v15, v18
	v_fmaak_f32 v21, v16, v21, 0xbe2aaa9d
	v_fmaak_f32 v22, v16, v22, 0x3d2aabf7
	;; [unrolled: 1-line block ×3, first 2 shown]
	v_fmac_f32_e32 v14, v14, v18
	v_mul_f32_e32 v7, v16, v21
	v_fmaak_f32 v21, v16, v22, 0xbf000004
	v_fma_f32 v15, v15, v19, 1.0
	v_and_b32_e32 v18, 1, v3
	v_lshlrev_b32_e32 v3, 30, v3
	v_fmac_f32_e32 v2, v2, v7
	v_fma_f32 v7, v16, v21, 1.0
	v_cndmask_b32_e32 v16, v15, v14, vcc_lo
	v_cmp_eq_u32_e64 s2, 0, v18
	v_cndmask_b32_e64 v14, -v14, v15, vcc_lo
	v_and_b32_e32 v3, 0x80000000, v3
	v_cmp_class_f32_e64 vcc_lo, v11, 0x1f8
	v_xor_b32_e32 v15, v11, v16
	v_cndmask_b32_e64 v17, v7, v2, s2
	v_cndmask_b32_e64 v2, -v2, v7, s2
	v_xor_b32_e32 v14, v5, v14
	v_cmp_class_f32_e64 s2, v12, 0x1f8
	v_xor3_b32 v1, v15, v1, v5
	v_xor_b32_e32 v7, v12, v17
	v_xor_b32_e32 v2, v3, v2
	v_cndmask_b32_e32 v5, 0x7fc00000, v1, vcc_lo
	v_xor3_b32 v0, v7, v0, v3
	v_cndmask_b32_e64 v1, 0x7fc00000, v20, s1
	v_cndmask_b32_e32 v3, 0x7fc00000, v14, vcc_lo
	v_cndmask_b32_e64 v2, 0x7fc00000, v2, s2
	v_mul_f32_e32 v18, v13, v5
	v_cndmask_b32_e64 v0, 0x7fc00000, v0, s2
	v_mul_f32_e32 v19, v1, v5
	v_mul_f32_e32 v11, v1, v3
	;; [unrolled: 1-line block ×9, first 2 shown]
	v_fma_f32 v17, v18, v2, -v17
	v_fmac_f32_e32 v14, v13, v0
	v_fmac_f32_e32 v15, v18, v0
	v_fma_f32 v18, v19, v0, -v1
	v_mov_b32_e32 v13, 0
.LBB0_1:                                ; =>This Loop Header: Depth=1
                                        ;     Child Loop BB0_2 Depth 2
	s_lshl_b64 s[2:3], s[20:21], 4
	s_mov_b32 s24, s11
	s_add_u32 s2, s14, s2
	s_addc_u32 s3, s15, s3
	s_mov_b64 s[22:23], s[12:13]
	global_load_dwordx4 v[21:24], v6, s[2:3]
	s_waitcnt vmcnt(0)
	v_ashrrev_i32_e32 v1, 31, v24
	v_mov_b32_e32 v0, v24
	v_fma_f32 v19, v12, v21, v8
	v_fma_f32 v20, v16, v21, v9
	v_fma_f32 v21, -v5, v21, v10
	v_lshlrev_b64 v[0:1], 4, v[0:1]
	v_fmac_f32_e32 v19, v17, v22
	v_fmac_f32_e32 v20, v15, v22
	;; [unrolled: 1-line block ×4, first 2 shown]
	s_waitcnt lgkmcnt(0)
	v_add_co_u32 v0, vcc_lo, s18, v0
	v_add_co_ci_u32_e64 v1, null, s19, v1, vcc_lo
	v_fmac_f32_e32 v20, v18, v23
	v_fmac_f32_e32 v21, v11, v23
	global_load_dwordx4 v[0:3], v[0:1], off
	s_waitcnt vmcnt(0)
	v_cmp_gt_f32_e64 s1, 0, v2
	v_cmp_lt_f32_e64 s2, 0, v2
	v_cmp_eq_u32_e64 s3, 0x46, v0
	v_cmp_eq_u32_e64 s4, 0x45, v0
	v_cndmask_b32_e64 v0, 1.0, 0x40b00000, s1
	v_cndmask_b32_e64 v22, 0xff7fffff, 1.0, s1
.LBB0_2:                                ;   Parent Loop BB0_1 Depth=1
                                        ; =>  This Inner Loop Header: Depth=2
	global_load_dwordx4 v[23:26], v6, s[22:23] offset:-8
	s_waitcnt vmcnt(0)
	v_ashrrev_i32_e32 v27, 31, v26
	v_sub_f32_e32 v24, v20, v24
	v_sub_f32_e32 v23, v19, v23
	v_sub_f32_e32 v25, v21, v25
	v_lshlrev_b64 v[26:27], 4, v[26:27]
	v_mul_f32_e32 v24, v24, v24
	v_fmac_f32_e32 v24, v23, v23
	v_add_co_u32 v26, vcc_lo, s18, v26
	v_add_co_ci_u32_e64 v27, null, s19, v27, vcc_lo
	v_fmac_f32_e32 v24, v25, v25
	global_load_dwordx4 v[26:29], v[26:27], off
	v_mul_f32_e32 v23, 0x4f800000, v24
	v_cmp_gt_f32_e32 vcc_lo, 0xf800000, v24
	v_cndmask_b32_e32 v23, v24, v23, vcc_lo
	v_sqrt_f32_e32 v24, v23
	v_add_nc_u32_e32 v25, -1, v24
	v_add_nc_u32_e32 v30, 1, v24
	v_fma_f32 v31, -v25, v24, v23
	v_fma_f32 v32, -v30, v24, v23
	v_cmp_ge_f32_e64 s5, 0, v31
	v_cndmask_b32_e64 v24, v24, v25, s5
	v_cmp_lt_f32_e64 s5, 0, v32
	v_cndmask_b32_e64 v24, v24, v30, s5
	v_mul_f32_e32 v25, 0x37800000, v24
	v_cndmask_b32_e32 v24, v24, v25, vcc_lo
	v_cmp_class_f32_e64 vcc_lo, v23, 0x260
	v_cndmask_b32_e32 v23, v24, v23, vcc_lo
	s_waitcnt vmcnt(0)
	v_add_f32_e32 v24, v1, v27
	v_cmp_gt_f32_e64 s8, 0, v28
	v_cmp_eq_u32_e32 vcc_lo, 0x46, v26
	v_cmp_lt_f32_e64 s6, 0, v28
	v_cmp_eq_u32_e64 s5, 0x45, v26
	v_div_scale_f32 v27, null, v24, v24, 1.0
	v_cndmask_b32_e64 v25, v22, v0, s8
	s_and_b32 s10, vcc_lo, s3
	v_mul_f32_e32 v26, v3, v29
	v_rcp_f32_e32 v33, v27
	v_div_scale_f32 v29, s9, 1.0, v24, 1.0
	v_div_scale_f32 v31, null, v25, v25, 1.0
	v_cndmask_b32_e64 v30, 2.0, 4.0, s10
	v_sub_f32_e32 v34, v23, v24
	s_and_b32 s6, s6, s1
	v_rcp_f32_e32 v35, v31
	v_cndmask_b32_e64 v32, v2, -v2, s6
	v_fma_f32 v38, -v27, v33, 1.0
	v_div_scale_f32 v36, s6, 1.0, v25, 1.0
	v_cmp_lt_f32_e32 vcc_lo, v34, v30
	v_cndmask_b32_e64 v37, 0.5, 0x3e800000, s10
	v_fmac_f32_e32 v33, v38, v33
	s_and_b32 s8, s8, s2
	v_cmp_neq_f32_e64 s7, 0, v28
	v_fma_f32 v40, -v31, v35, 1.0
	v_cndmask_b32_e64 v28, v28, -v28, s8
	v_mul_f32_e32 v30, v29, v33
	v_cmp_gt_f32_e64 s8, 0, v34
	v_fma_f32 v37, -v34, v37, 1.0
	v_fmac_f32_e32 v35, v40, v35
	v_cndmask_b32_e64 v38, 0, 1.0, vcc_lo
	v_fma_f32 v41, -v27, v30, v29
	s_mov_b32 vcc_lo, s9
	v_cmp_lt_f32_e64 s10, v34, v25
	v_mul_f32_e32 v40, v36, v35
	v_cndmask_b32_e64 v39, 0, 0x42980000, s8
	v_fmac_f32_e32 v30, v41, v33
	s_or_b32 s5, s5, s4
	v_fma_f32 v42, -v31, v40, v36
	v_fma_f32 v27, -v27, v30, v29
	v_cndmask_b32_e64 v29, v37, 1.0, s8
	v_fmac_f32_e32 v40, v42, v35
	v_div_fmas_f32 v27, v27, v33, v30
	s_mov_b32 vcc_lo, s6
	v_mul_f32_e32 v29, v38, v29
	v_fma_f32 v31, -v31, v40, v36
	s_and_b32 s6, s7, s10
	v_div_fixup_f32 v24, v27, v24, 1.0
	v_add_f32_e32 v27, v28, v32
	v_mul_f32_e32 v26, v26, v29
	v_div_fmas_f32 v30, v31, v35, v40
	s_add_u32 s22, s22, 16
	v_fma_f32 v23, -v23, v24, 1.0
	v_cndmask_b32_e64 v24, 0, 1.0, s6
	v_cndmask_b32_e64 v26, v26, -|v26|, s5
	v_div_fixup_f32 v25, v30, v25, 1.0
	s_addc_u32 s23, s23, 0
	v_fmac_f32_e32 v13, v23, v39
	v_mul_f32_e32 v23, v27, v24
	s_add_i32 s24, s24, -1
	v_fma_f32 v25, -v34, v25, 1.0
	s_cmp_lg_u32 s24, 0
	v_fmac_f32_e32 v13, 0x42340000, v26
	v_cndmask_b32_e64 v24, v25, 1.0, s8
	v_fmac_f32_e32 v13, v23, v24
	s_cbranch_scc1 .LBB0_2
; %bb.3:                                ;   in Loop: Header=BB0_1 Depth=1
	s_add_i32 s20, s20, 1
	s_cmp_lg_u32 s20, s28
	s_cbranch_scc1 .LBB0_1
; %bb.4:
	s_and_saveexec_b32 s1, s0
	s_cbranch_execz .LBB0_6
; %bb.5:
	v_mov_b32_e32 v5, 0
	v_mul_f32_e32 v2, 0.5, v13
	v_lshlrev_b64 v[0:1], 2, v[4:5]
	v_add_co_u32 v0, vcc_lo, s16, v0
	v_add_co_ci_u32_e64 v1, null, s17, v1, vcc_lo
	global_store_dword v[0:1], v2, off
.LBB0_6:
	s_endpgm
	.section	.rodata,"a",@progbits
	.p2align	6, 0x0
	.amdhsa_kernel _ZL11fasten_mainILm1EEviiPK4AtomS2_PKfS4_S4_S4_S4_S4_PfPK8FFParamsi
		.amdhsa_group_segment_fixed_size 0
		.amdhsa_private_segment_fixed_size 0
		.amdhsa_kernarg_size 352
		.amdhsa_user_sgpr_count 6
		.amdhsa_user_sgpr_private_segment_buffer 1
		.amdhsa_user_sgpr_dispatch_ptr 0
		.amdhsa_user_sgpr_queue_ptr 0
		.amdhsa_user_sgpr_kernarg_segment_ptr 1
		.amdhsa_user_sgpr_dispatch_id 0
		.amdhsa_user_sgpr_flat_scratch_init 0
		.amdhsa_user_sgpr_private_segment_size 0
		.amdhsa_wavefront_size32 1
		.amdhsa_uses_dynamic_stack 0
		.amdhsa_system_sgpr_private_segment_wavefront_offset 0
		.amdhsa_system_sgpr_workgroup_id_x 1
		.amdhsa_system_sgpr_workgroup_id_y 0
		.amdhsa_system_sgpr_workgroup_id_z 0
		.amdhsa_system_sgpr_workgroup_info 0
		.amdhsa_system_vgpr_workitem_id 0
		.amdhsa_next_free_vgpr 45
		.amdhsa_next_free_sgpr 29
		.amdhsa_reserve_vcc 1
		.amdhsa_reserve_flat_scratch 0
		.amdhsa_float_round_mode_32 0
		.amdhsa_float_round_mode_16_64 0
		.amdhsa_float_denorm_mode_32 3
		.amdhsa_float_denorm_mode_16_64 3
		.amdhsa_dx10_clamp 1
		.amdhsa_ieee_mode 1
		.amdhsa_fp16_overflow 0
		.amdhsa_workgroup_processor_mode 1
		.amdhsa_memory_ordered 1
		.amdhsa_forward_progress 1
		.amdhsa_shared_vgpr_count 0
		.amdhsa_exception_fp_ieee_invalid_op 0
		.amdhsa_exception_fp_denorm_src 0
		.amdhsa_exception_fp_ieee_div_zero 0
		.amdhsa_exception_fp_ieee_overflow 0
		.amdhsa_exception_fp_ieee_underflow 0
		.amdhsa_exception_fp_ieee_inexact 0
		.amdhsa_exception_int_div_zero 0
	.end_amdhsa_kernel
	.section	.text._ZL11fasten_mainILm1EEviiPK4AtomS2_PKfS4_S4_S4_S4_S4_PfPK8FFParamsi,"axG",@progbits,_ZL11fasten_mainILm1EEviiPK4AtomS2_PKfS4_S4_S4_S4_S4_PfPK8FFParamsi,comdat
.Lfunc_end0:
	.size	_ZL11fasten_mainILm1EEviiPK4AtomS2_PKfS4_S4_S4_S4_S4_PfPK8FFParamsi, .Lfunc_end0-_ZL11fasten_mainILm1EEviiPK4AtomS2_PKfS4_S4_S4_S4_S4_PfPK8FFParamsi
                                        ; -- End function
	.set _ZL11fasten_mainILm1EEviiPK4AtomS2_PKfS4_S4_S4_S4_S4_PfPK8FFParamsi.num_vgpr, 45
	.set _ZL11fasten_mainILm1EEviiPK4AtomS2_PKfS4_S4_S4_S4_S4_PfPK8FFParamsi.num_agpr, 0
	.set _ZL11fasten_mainILm1EEviiPK4AtomS2_PKfS4_S4_S4_S4_S4_PfPK8FFParamsi.numbered_sgpr, 29
	.set _ZL11fasten_mainILm1EEviiPK4AtomS2_PKfS4_S4_S4_S4_S4_PfPK8FFParamsi.num_named_barrier, 0
	.set _ZL11fasten_mainILm1EEviiPK4AtomS2_PKfS4_S4_S4_S4_S4_PfPK8FFParamsi.private_seg_size, 0
	.set _ZL11fasten_mainILm1EEviiPK4AtomS2_PKfS4_S4_S4_S4_S4_PfPK8FFParamsi.uses_vcc, 1
	.set _ZL11fasten_mainILm1EEviiPK4AtomS2_PKfS4_S4_S4_S4_S4_PfPK8FFParamsi.uses_flat_scratch, 0
	.set _ZL11fasten_mainILm1EEviiPK4AtomS2_PKfS4_S4_S4_S4_S4_PfPK8FFParamsi.has_dyn_sized_stack, 0
	.set _ZL11fasten_mainILm1EEviiPK4AtomS2_PKfS4_S4_S4_S4_S4_PfPK8FFParamsi.has_recursion, 0
	.set _ZL11fasten_mainILm1EEviiPK4AtomS2_PKfS4_S4_S4_S4_S4_PfPK8FFParamsi.has_indirect_call, 0
	.section	.AMDGPU.csdata,"",@progbits
; Kernel info:
; codeLenInByte = 3592
; TotalNumSgprs: 31
; NumVgprs: 45
; ScratchSize: 0
; MemoryBound: 0
; FloatMode: 240
; IeeeMode: 1
; LDSByteSize: 0 bytes/workgroup (compile time only)
; SGPRBlocks: 0
; VGPRBlocks: 5
; NumSGPRsForWavesPerEU: 31
; NumVGPRsForWavesPerEU: 45
; Occupancy: 16
; WaveLimiterHint : 1
; COMPUTE_PGM_RSRC2:SCRATCH_EN: 0
; COMPUTE_PGM_RSRC2:USER_SGPR: 6
; COMPUTE_PGM_RSRC2:TRAP_HANDLER: 0
; COMPUTE_PGM_RSRC2:TGID_X_EN: 1
; COMPUTE_PGM_RSRC2:TGID_Y_EN: 0
; COMPUTE_PGM_RSRC2:TGID_Z_EN: 0
; COMPUTE_PGM_RSRC2:TIDIG_COMP_CNT: 0
	.section	.text._ZL11fasten_mainILm2EEviiPK4AtomS2_PKfS4_S4_S4_S4_S4_PfPK8FFParamsi,"axG",@progbits,_ZL11fasten_mainILm2EEviiPK4AtomS2_PKfS4_S4_S4_S4_S4_PfPK8FFParamsi,comdat
	.globl	_ZL11fasten_mainILm2EEviiPK4AtomS2_PKfS4_S4_S4_S4_S4_PfPK8FFParamsi ; -- Begin function _ZL11fasten_mainILm2EEviiPK4AtomS2_PKfS4_S4_S4_S4_S4_PfPK8FFParamsi
	.p2align	8
	.type	_ZL11fasten_mainILm2EEviiPK4AtomS2_PKfS4_S4_S4_S4_S4_PfPK8FFParamsi,@function
_ZL11fasten_mainILm2EEviiPK4AtomS2_PKfS4_S4_S4_S4_S4_PfPK8FFParamsi: ; @_ZL11fasten_mainILm2EEviiPK4AtomS2_PKfS4_S4_S4_S4_S4_PfPK8FFParamsi
; %bb.0:
	s_add_u32 s0, s0, s7
	s_clause 0x1
	s_load_dword s7, s[4:5], 0x6c
	s_load_dword s8, s[4:5], 0x58
	s_addc_u32 s1, s1, 0
	s_load_dwordx16 s[16:31], s[4:5], 0x8
	v_mov_b32_e32 v1, 0
	v_mov_b32_e32 v6, 0
	;; [unrolled: 1-line block ×3, first 2 shown]
	s_mov_b32 s9, 48
	s_mov_b32 s15, 0
	s_mov_b32 s14, 0
	s_mov_b32 s13, -1
	s_mov_b32 s10, 0x7fffff
	s_mov_b32 s11, 0xb94c1982
	;; [unrolled: 1-line block ×3, first 2 shown]
	s_waitcnt lgkmcnt(0)
	s_and_b32 s33, s7, 0xffff
	s_add_i32 s7, s8, -2
	s_mul_i32 s6, s6, s33
	v_lshl_add_u32 v4, s6, 1, v0
	v_cmp_gt_i32_e64 s6, s8, v4
	v_cndmask_b32_e64 v5, s7, v4, s6
	v_ashrrev_i32_e32 v8, 31, v5
.LBB1_1:                                ; =>This Inner Loop Header: Depth=1
	s_mul_i32 s7, s14, s33
                                        ; implicit-def: $vgpr12
                                        ; implicit-def: $vgpr11
	v_add_co_u32 v2, vcc_lo, s7, v5
	v_add_co_ci_u32_e64 v3, null, 0, v8, vcc_lo
	v_lshlrev_b64 v[2:3], 2, v[2:3]
	v_add_co_u32 v9, vcc_lo, s20, v2
	v_add_co_ci_u32_e64 v10, null, s21, v3, vcc_lo
	global_load_dword v9, v[9:10], off
	s_waitcnt vmcnt(0)
	v_and_b32_e32 v10, 0x7fffffff, v9
	v_cmp_ngt_f32_e64 s34, 0x48000000, |v9|
	v_lshrrev_b32_e32 v0, 23, v10
	v_and_or_b32 v14, v10, s10, 0x800000
	v_add_nc_u32_e32 v16, 0xffffff88, v0
	s_and_saveexec_b32 s7, s34
	s_xor_b32 s35, exec_lo, s7
	s_cbranch_execz .LBB1_3
; %bb.2:                                ;   in Loop: Header=BB1_1 Depth=1
	v_mad_u64_u32 v[11:12], null, 0xfe5163ab, v14, 0
	v_cmp_lt_u32_e32 vcc_lo, 63, v16
	v_mov_b32_e32 v0, v12
	v_mad_u64_u32 v[12:13], null, 0x3c439041, v14, v[0:1]
	v_mov_b32_e32 v0, v13
	v_cndmask_b32_e64 v13, 0, 0xffffffc0, vcc_lo
	v_mad_u64_u32 v[17:18], null, 0xdb629599, v14, v[0:1]
	v_add_nc_u32_e32 v13, v13, v16
	v_cmp_lt_u32_e64 s7, 31, v13
	v_mov_b32_e32 v0, v18
	v_cndmask_b32_e32 v11, v17, v11, vcc_lo
	v_cndmask_b32_e64 v15, 0, 0xffffffe0, s7
	v_mad_u64_u32 v[18:19], null, 0xf534ddc0, v14, v[0:1]
	v_add_nc_u32_e32 v13, v15, v13
	v_mov_b32_e32 v0, v19
	v_cmp_lt_u32_e64 s8, 31, v13
	v_cndmask_b32_e32 v12, v18, v12, vcc_lo
	v_mad_u64_u32 v[19:20], null, 0xfc2757d1, v14, v[0:1]
	v_cndmask_b32_e64 v11, v12, v11, s7
	v_mov_b32_e32 v0, v20
	v_mad_u64_u32 v[20:21], null, 0x4e441529, v14, v[0:1]
	v_mov_b32_e32 v0, v21
	v_cndmask_b32_e32 v15, v20, v18, vcc_lo
	v_mad_u64_u32 v[21:22], null, 0xa2f9836e, v14, v[0:1]
	v_cndmask_b32_e64 v0, 0, 0xffffffe0, s8
	v_add_nc_u32_e32 v0, v0, v13
	v_cndmask_b32_e32 v21, v21, v19, vcc_lo
	v_cndmask_b32_e32 v20, v22, v20, vcc_lo
	;; [unrolled: 1-line block ×3, first 2 shown]
	v_cmp_eq_u32_e32 vcc_lo, 0, v0
	v_cndmask_b32_e64 v13, v21, v15, s7
	v_cndmask_b32_e64 v18, v20, v21, s7
	;; [unrolled: 1-line block ×3, first 2 shown]
	v_sub_nc_u32_e32 v20, 32, v0
	v_cndmask_b32_e64 v19, v19, v12, s7
	v_cndmask_b32_e64 v18, v18, v13, s8
	;; [unrolled: 1-line block ×5, first 2 shown]
	v_alignbit_b32 v21, v18, v13, v20
	v_alignbit_b32 v17, v13, v15, v20
	;; [unrolled: 1-line block ×3, first 2 shown]
	v_cndmask_b32_e32 v0, v21, v18, vcc_lo
	v_cndmask_b32_e32 v12, v17, v13, vcc_lo
	;; [unrolled: 1-line block ×3, first 2 shown]
	v_bfe_u32 v13, v0, 29, 1
	v_alignbit_b32 v17, v0, v12, 30
	v_alignbit_b32 v12, v12, v15, 30
	;; [unrolled: 1-line block ×3, first 2 shown]
	v_sub_nc_u32_e32 v18, 0, v13
	v_xor_b32_e32 v17, v17, v18
	v_xor_b32_e32 v12, v12, v18
	;; [unrolled: 1-line block ×3, first 2 shown]
	v_lshrrev_b32_e32 v18, 29, v0
	v_lshrrev_b32_e32 v0, 30, v0
	v_ffbh_u32_e32 v19, v17
	v_min_u32_e32 v19, 32, v19
	v_sub_nc_u32_e32 v15, 31, v19
	v_lshlrev_b32_e32 v20, 23, v19
	v_alignbit_b32 v17, v17, v12, v15
	v_alignbit_b32 v11, v12, v11, v15
	v_lshlrev_b32_e32 v12, 31, v18
	v_alignbit_b32 v15, v17, v11, 9
	v_or_b32_e32 v18, 0.5, v12
	v_lshrrev_b32_e32 v17, 9, v17
	v_or_b32_e32 v12, 0x33000000, v12
	v_ffbh_u32_e32 v21, v15
	v_sub_nc_u32_e32 v18, v18, v20
	v_min_u32_e32 v20, 32, v21
	v_or_b32_e32 v17, v17, v18
	v_not_b32_e32 v18, v20
	v_mul_f32_e32 v21, 0x3fc90fda, v17
	v_add_lshl_u32 v19, v20, v19, 23
	v_alignbit_b32 v11, v15, v11, v18
	v_fma_f32 v15, 0x3fc90fda, v17, -v21
	v_sub_nc_u32_e32 v12, v12, v19
	v_lshrrev_b32_e32 v11, 9, v11
	v_fmac_f32_e32 v15, 0x33a22168, v17
	v_or_b32_e32 v11, v12, v11
	v_add_nc_u32_e32 v12, v13, v0
	v_fmac_f32_e32 v15, 0x3fc90fda, v11
	v_add_f32_e32 v11, v21, v15
.LBB1_3:                                ;   in Loop: Header=BB1_1 Depth=1
	s_or_saveexec_b32 s7, s35
	v_mul_f32_e64 v0, 0x3f22f983, |v9|
	v_rndne_f32_e32 v0, v0
	s_xor_b32 exec_lo, exec_lo, s7
; %bb.4:                                ;   in Loop: Header=BB1_1 Depth=1
	v_fma_f32 v11, 0xbfc90fda, v0, |v9|
	v_cvt_i32_f32_e32 v12, v0
	v_fmac_f32_e32 v11, 0xb3a22168, v0
	v_fmac_f32_e32 v11, 0xa7c234c4, v0
; %bb.5:                                ;   in Loop: Header=BB1_1 Depth=1
	s_or_b32 exec_lo, exec_lo, s7
                                        ; implicit-def: $vgpr15
                                        ; implicit-def: $vgpr13
	s_and_saveexec_b32 s7, s34
	s_xor_b32 s34, exec_lo, s7
	s_cbranch_execz .LBB1_7
; %bb.6:                                ;   in Loop: Header=BB1_1 Depth=1
	v_mad_u64_u32 v[17:18], null, 0xfe5163ab, v14, 0
	v_cmp_lt_u32_e32 vcc_lo, 63, v16
	v_cndmask_b32_e64 v13, 0, 0xffffffc0, vcc_lo
	v_mov_b32_e32 v0, v18
	v_add_nc_u32_e32 v13, v13, v16
	v_mad_u64_u32 v[18:19], null, 0x3c439041, v14, v[0:1]
	v_cmp_lt_u32_e64 s7, 31, v13
	v_mov_b32_e32 v0, v19
	v_mad_u64_u32 v[19:20], null, 0xdb629599, v14, v[0:1]
	v_mov_b32_e32 v0, v20
	v_cndmask_b32_e32 v17, v19, v17, vcc_lo
	v_mad_u64_u32 v[20:21], null, 0xf534ddc0, v14, v[0:1]
	v_mov_b32_e32 v0, v21
	v_mad_u64_u32 v[21:22], null, 0xfc2757d1, v14, v[0:1]
	v_mov_b32_e32 v0, v22
	v_cndmask_b32_e64 v22, 0, 0xffffffe0, s7
	v_mad_u64_u32 v[15:16], null, 0x4e441529, v14, v[0:1]
	v_mov_b32_e32 v0, v16
	v_add_nc_u32_e32 v16, v22, v13
	v_cndmask_b32_e32 v22, v15, v20, vcc_lo
	v_mad_u64_u32 v[13:14], null, 0xa2f9836e, v14, v[0:1]
	v_cmp_lt_u32_e64 s8, 31, v16
	v_cndmask_b32_e64 v0, 0, 0xffffffe0, s8
	v_cndmask_b32_e32 v13, v13, v21, vcc_lo
	v_cndmask_b32_e32 v14, v14, v15, vcc_lo
	v_cndmask_b32_e32 v15, v21, v19, vcc_lo
	v_add_nc_u32_e32 v0, v0, v16
	v_cndmask_b32_e32 v16, v20, v18, vcc_lo
	v_cndmask_b32_e64 v18, v13, v22, s7
	v_cndmask_b32_e64 v13, v14, v13, s7
	;; [unrolled: 1-line block ×3, first 2 shown]
	v_sub_nc_u32_e32 v20, 32, v0
	v_cndmask_b32_e64 v15, v15, v16, s7
	v_cmp_eq_u32_e32 vcc_lo, 0, v0
	v_cndmask_b32_e64 v13, v13, v18, s8
	v_cndmask_b32_e64 v18, v18, v14, s8
	;; [unrolled: 1-line block ×3, first 2 shown]
	v_alignbit_b32 v21, v13, v18, v20
	v_alignbit_b32 v19, v18, v14, v20
	v_cndmask_b32_e32 v0, v21, v13, vcc_lo
	v_cndmask_b32_e64 v13, v16, v17, s7
	v_cndmask_b32_e32 v16, v19, v18, vcc_lo
	v_bfe_u32 v17, v0, 29, 1
	v_cndmask_b32_e64 v13, v15, v13, s8
	v_alignbit_b32 v15, v0, v16, 30
	v_sub_nc_u32_e32 v18, 0, v17
	v_alignbit_b32 v19, v14, v13, v20
	v_xor_b32_e32 v15, v15, v18
	v_cndmask_b32_e32 v14, v19, v14, vcc_lo
	v_ffbh_u32_e32 v19, v15
	v_alignbit_b32 v16, v16, v14, 30
	v_alignbit_b32 v13, v14, v13, 30
	v_min_u32_e32 v19, 32, v19
	v_xor_b32_e32 v14, v16, v18
	v_xor_b32_e32 v13, v13, v18
	v_lshrrev_b32_e32 v18, 29, v0
	v_lshrrev_b32_e32 v0, 30, v0
	v_sub_nc_u32_e32 v16, 31, v19
	v_lshlrev_b32_e32 v20, 23, v19
	v_alignbit_b32 v15, v15, v14, v16
	v_alignbit_b32 v13, v14, v13, v16
	v_lshlrev_b32_e32 v14, 31, v18
	v_alignbit_b32 v16, v15, v13, 9
	v_or_b32_e32 v18, 0.5, v14
	v_lshrrev_b32_e32 v15, 9, v15
	v_or_b32_e32 v14, 0x33000000, v14
	v_ffbh_u32_e32 v21, v16
	v_sub_nc_u32_e32 v18, v18, v20
	v_min_u32_e32 v20, 32, v21
	v_or_b32_e32 v15, v15, v18
	v_not_b32_e32 v18, v20
	v_mul_f32_e32 v21, 0x3fc90fda, v15
	v_add_lshl_u32 v19, v20, v19, 23
	v_alignbit_b32 v13, v16, v13, v18
	v_fma_f32 v16, 0x3fc90fda, v15, -v21
	v_sub_nc_u32_e32 v14, v14, v19
	v_lshrrev_b32_e32 v13, 9, v13
	v_fmac_f32_e32 v16, 0x33a22168, v15
	v_add_nc_u32_e32 v15, v17, v0
                                        ; implicit-def: $vgpr0
	v_or_b32_e32 v13, v14, v13
	v_fmac_f32_e32 v16, 0x3fc90fda, v13
	v_add_f32_e32 v13, v21, v16
	s_andn2_saveexec_b32 s7, s34
	s_cbranch_execnz .LBB1_8
	s_branch .LBB1_9
.LBB1_7:                                ;   in Loop: Header=BB1_1 Depth=1
	s_andn2_saveexec_b32 s7, s34
.LBB1_8:                                ;   in Loop: Header=BB1_1 Depth=1
	v_fma_f32 v13, 0xbfc90fda, v0, |v9|
	v_cvt_i32_f32_e32 v15, v0
	v_fmac_f32_e32 v13, 0xb3a22168, v0
	v_fmac_f32_e32 v13, 0xa7c234c4, v0
.LBB1_9:                                ;   in Loop: Header=BB1_1 Depth=1
	s_or_b32 exec_lo, exec_lo, s7
	v_add_co_u32 v16, vcc_lo, s22, v2
	v_add_co_ci_u32_e64 v17, null, s23, v3, vcc_lo
                                        ; implicit-def: $vgpr18
	global_load_dword v14, v[16:17], off
                                        ; implicit-def: $vgpr17
	s_waitcnt vmcnt(0)
	v_and_b32_e32 v16, 0x7fffffff, v14
	v_cmp_ngt_f32_e64 s34, 0x48000000, |v14|
	v_lshrrev_b32_e32 v0, 23, v16
	v_and_or_b32 v20, v16, s10, 0x800000
	v_add_nc_u32_e32 v22, 0xffffff88, v0
	s_and_saveexec_b32 s7, s34
	s_xor_b32 s35, exec_lo, s7
	s_cbranch_execz .LBB1_11
; %bb.10:                               ;   in Loop: Header=BB1_1 Depth=1
	v_mad_u64_u32 v[17:18], null, 0xfe5163ab, v20, 0
	v_cmp_lt_u32_e32 vcc_lo, 63, v22
	v_mov_b32_e32 v0, v18
	v_mad_u64_u32 v[18:19], null, 0x3c439041, v20, v[0:1]
	v_mov_b32_e32 v0, v19
	v_cndmask_b32_e64 v19, 0, 0xffffffc0, vcc_lo
	v_mad_u64_u32 v[23:24], null, 0xdb629599, v20, v[0:1]
	v_add_nc_u32_e32 v19, v19, v22
	v_cmp_lt_u32_e64 s7, 31, v19
	v_mov_b32_e32 v0, v24
	v_cndmask_b32_e32 v17, v23, v17, vcc_lo
	v_cndmask_b32_e64 v21, 0, 0xffffffe0, s7
	v_mad_u64_u32 v[24:25], null, 0xf534ddc0, v20, v[0:1]
	v_add_nc_u32_e32 v19, v21, v19
	v_mov_b32_e32 v0, v25
	v_cmp_lt_u32_e64 s8, 31, v19
	v_cndmask_b32_e32 v18, v24, v18, vcc_lo
	v_mad_u64_u32 v[25:26], null, 0xfc2757d1, v20, v[0:1]
	v_cndmask_b32_e64 v17, v18, v17, s7
	v_mov_b32_e32 v0, v26
	v_mad_u64_u32 v[26:27], null, 0x4e441529, v20, v[0:1]
	v_mov_b32_e32 v0, v27
	v_cndmask_b32_e32 v21, v26, v24, vcc_lo
	v_mad_u64_u32 v[27:28], null, 0xa2f9836e, v20, v[0:1]
	v_cndmask_b32_e64 v0, 0, 0xffffffe0, s8
	v_add_nc_u32_e32 v0, v0, v19
	v_cndmask_b32_e32 v27, v27, v25, vcc_lo
	v_cndmask_b32_e32 v26, v28, v26, vcc_lo
	;; [unrolled: 1-line block ×3, first 2 shown]
	v_cmp_eq_u32_e32 vcc_lo, 0, v0
	v_cndmask_b32_e64 v19, v27, v21, s7
	v_cndmask_b32_e64 v24, v26, v27, s7
	;; [unrolled: 1-line block ×3, first 2 shown]
	v_sub_nc_u32_e32 v26, 32, v0
	v_cndmask_b32_e64 v25, v25, v18, s7
	v_cndmask_b32_e64 v24, v24, v19, s8
	;; [unrolled: 1-line block ×5, first 2 shown]
	v_alignbit_b32 v27, v24, v19, v26
	v_alignbit_b32 v23, v19, v21, v26
	;; [unrolled: 1-line block ×3, first 2 shown]
	v_cndmask_b32_e32 v0, v27, v24, vcc_lo
	v_cndmask_b32_e32 v18, v23, v19, vcc_lo
	;; [unrolled: 1-line block ×3, first 2 shown]
	v_bfe_u32 v19, v0, 29, 1
	v_alignbit_b32 v23, v0, v18, 30
	v_alignbit_b32 v18, v18, v21, 30
	;; [unrolled: 1-line block ×3, first 2 shown]
	v_sub_nc_u32_e32 v24, 0, v19
	v_xor_b32_e32 v23, v23, v24
	v_xor_b32_e32 v18, v18, v24
	;; [unrolled: 1-line block ×3, first 2 shown]
	v_lshrrev_b32_e32 v24, 29, v0
	v_lshrrev_b32_e32 v0, 30, v0
	v_ffbh_u32_e32 v25, v23
	v_min_u32_e32 v25, 32, v25
	v_sub_nc_u32_e32 v21, 31, v25
	v_lshlrev_b32_e32 v26, 23, v25
	v_alignbit_b32 v23, v23, v18, v21
	v_alignbit_b32 v17, v18, v17, v21
	v_lshlrev_b32_e32 v18, 31, v24
	v_alignbit_b32 v21, v23, v17, 9
	v_or_b32_e32 v24, 0.5, v18
	v_lshrrev_b32_e32 v23, 9, v23
	v_or_b32_e32 v18, 0x33000000, v18
	v_ffbh_u32_e32 v27, v21
	v_sub_nc_u32_e32 v24, v24, v26
	v_min_u32_e32 v26, 32, v27
	v_or_b32_e32 v23, v23, v24
	v_not_b32_e32 v24, v26
	v_mul_f32_e32 v27, 0x3fc90fda, v23
	v_add_lshl_u32 v25, v26, v25, 23
	v_alignbit_b32 v17, v21, v17, v24
	v_fma_f32 v21, 0x3fc90fda, v23, -v27
	v_sub_nc_u32_e32 v18, v18, v25
	v_lshrrev_b32_e32 v17, 9, v17
	v_fmac_f32_e32 v21, 0x33a22168, v23
	v_or_b32_e32 v17, v18, v17
	v_add_nc_u32_e32 v18, v19, v0
	v_fmac_f32_e32 v21, 0x3fc90fda, v17
	v_add_f32_e32 v17, v27, v21
.LBB1_11:                               ;   in Loop: Header=BB1_1 Depth=1
	s_or_saveexec_b32 s7, s35
	v_mul_f32_e64 v0, 0x3f22f983, |v14|
	v_rndne_f32_e32 v0, v0
	s_xor_b32 exec_lo, exec_lo, s7
; %bb.12:                               ;   in Loop: Header=BB1_1 Depth=1
	v_fma_f32 v17, 0xbfc90fda, v0, |v14|
	v_cvt_i32_f32_e32 v18, v0
	v_fmac_f32_e32 v17, 0xb3a22168, v0
	v_fmac_f32_e32 v17, 0xa7c234c4, v0
; %bb.13:                               ;   in Loop: Header=BB1_1 Depth=1
	s_or_b32 exec_lo, exec_lo, s7
                                        ; implicit-def: $vgpr21
                                        ; implicit-def: $vgpr19
	s_and_saveexec_b32 s7, s34
	s_xor_b32 s34, exec_lo, s7
	s_cbranch_execz .LBB1_15
; %bb.14:                               ;   in Loop: Header=BB1_1 Depth=1
	v_mad_u64_u32 v[23:24], null, 0xfe5163ab, v20, 0
	v_cmp_lt_u32_e32 vcc_lo, 63, v22
	v_cndmask_b32_e64 v19, 0, 0xffffffc0, vcc_lo
	v_mov_b32_e32 v0, v24
	v_add_nc_u32_e32 v19, v19, v22
	v_mad_u64_u32 v[24:25], null, 0x3c439041, v20, v[0:1]
	v_cmp_lt_u32_e64 s7, 31, v19
	v_mov_b32_e32 v0, v25
	v_mad_u64_u32 v[25:26], null, 0xdb629599, v20, v[0:1]
	v_mov_b32_e32 v0, v26
	v_cndmask_b32_e32 v23, v25, v23, vcc_lo
	v_mad_u64_u32 v[26:27], null, 0xf534ddc0, v20, v[0:1]
	v_mov_b32_e32 v0, v27
	v_mad_u64_u32 v[27:28], null, 0xfc2757d1, v20, v[0:1]
	v_mov_b32_e32 v0, v28
	v_cndmask_b32_e64 v28, 0, 0xffffffe0, s7
	v_mad_u64_u32 v[21:22], null, 0x4e441529, v20, v[0:1]
	v_mov_b32_e32 v0, v22
	v_add_nc_u32_e32 v22, v28, v19
	v_cndmask_b32_e32 v28, v21, v26, vcc_lo
	v_mad_u64_u32 v[19:20], null, 0xa2f9836e, v20, v[0:1]
	v_cmp_lt_u32_e64 s8, 31, v22
	v_cndmask_b32_e64 v0, 0, 0xffffffe0, s8
	v_cndmask_b32_e32 v19, v19, v27, vcc_lo
	v_cndmask_b32_e32 v20, v20, v21, vcc_lo
	;; [unrolled: 1-line block ×3, first 2 shown]
	v_add_nc_u32_e32 v0, v0, v22
	v_cndmask_b32_e32 v22, v26, v24, vcc_lo
	v_cndmask_b32_e64 v24, v19, v28, s7
	v_cndmask_b32_e64 v19, v20, v19, s7
	;; [unrolled: 1-line block ×3, first 2 shown]
	v_sub_nc_u32_e32 v26, 32, v0
	v_cndmask_b32_e64 v21, v21, v22, s7
	v_cmp_eq_u32_e32 vcc_lo, 0, v0
	v_cndmask_b32_e64 v19, v19, v24, s8
	v_cndmask_b32_e64 v24, v24, v20, s8
	;; [unrolled: 1-line block ×3, first 2 shown]
	v_alignbit_b32 v27, v19, v24, v26
	v_alignbit_b32 v25, v24, v20, v26
	v_cndmask_b32_e32 v0, v27, v19, vcc_lo
	v_cndmask_b32_e64 v19, v22, v23, s7
	v_cndmask_b32_e32 v22, v25, v24, vcc_lo
	v_bfe_u32 v23, v0, 29, 1
	v_cndmask_b32_e64 v19, v21, v19, s8
	v_alignbit_b32 v21, v0, v22, 30
	v_sub_nc_u32_e32 v24, 0, v23
	v_alignbit_b32 v25, v20, v19, v26
	v_xor_b32_e32 v21, v21, v24
	v_cndmask_b32_e32 v20, v25, v20, vcc_lo
	v_ffbh_u32_e32 v25, v21
	v_alignbit_b32 v22, v22, v20, 30
	v_alignbit_b32 v19, v20, v19, 30
	v_min_u32_e32 v25, 32, v25
	v_xor_b32_e32 v20, v22, v24
	v_xor_b32_e32 v19, v19, v24
	v_lshrrev_b32_e32 v24, 29, v0
	v_lshrrev_b32_e32 v0, 30, v0
	v_sub_nc_u32_e32 v22, 31, v25
	v_lshlrev_b32_e32 v26, 23, v25
	v_alignbit_b32 v21, v21, v20, v22
	v_alignbit_b32 v19, v20, v19, v22
	v_lshlrev_b32_e32 v20, 31, v24
	v_alignbit_b32 v22, v21, v19, 9
	v_or_b32_e32 v24, 0.5, v20
	v_lshrrev_b32_e32 v21, 9, v21
	v_or_b32_e32 v20, 0x33000000, v20
	v_ffbh_u32_e32 v27, v22
	v_sub_nc_u32_e32 v24, v24, v26
	v_min_u32_e32 v26, 32, v27
	v_or_b32_e32 v21, v21, v24
	v_not_b32_e32 v24, v26
	v_mul_f32_e32 v27, 0x3fc90fda, v21
	v_add_lshl_u32 v25, v26, v25, 23
	v_alignbit_b32 v19, v22, v19, v24
	v_fma_f32 v22, 0x3fc90fda, v21, -v27
	v_sub_nc_u32_e32 v20, v20, v25
	v_lshrrev_b32_e32 v19, 9, v19
	v_fmac_f32_e32 v22, 0x33a22168, v21
	v_add_nc_u32_e32 v21, v23, v0
                                        ; implicit-def: $vgpr0
	v_or_b32_e32 v19, v20, v19
	v_fmac_f32_e32 v22, 0x3fc90fda, v19
	v_add_f32_e32 v19, v27, v22
	s_andn2_saveexec_b32 s7, s34
	s_cbranch_execnz .LBB1_16
	s_branch .LBB1_17
.LBB1_15:                               ;   in Loop: Header=BB1_1 Depth=1
	s_andn2_saveexec_b32 s7, s34
.LBB1_16:                               ;   in Loop: Header=BB1_1 Depth=1
	v_fma_f32 v19, 0xbfc90fda, v0, |v14|
	v_cvt_i32_f32_e32 v21, v0
	v_fmac_f32_e32 v19, 0xb3a22168, v0
	v_fmac_f32_e32 v19, 0xa7c234c4, v0
.LBB1_17:                               ;   in Loop: Header=BB1_1 Depth=1
	s_or_b32 exec_lo, exec_lo, s7
	v_add_co_u32 v22, vcc_lo, s24, v2
	v_add_co_ci_u32_e64 v23, null, s25, v3, vcc_lo
                                        ; implicit-def: $vgpr24
	global_load_dword v20, v[22:23], off
                                        ; implicit-def: $vgpr23
	s_waitcnt vmcnt(0)
	v_and_b32_e32 v22, 0x7fffffff, v20
	v_cmp_ngt_f32_e64 s34, 0x48000000, |v20|
	v_lshrrev_b32_e32 v0, 23, v22
	v_and_or_b32 v25, v22, s10, 0x800000
	v_add_nc_u32_e32 v26, 0xffffff88, v0
	s_and_saveexec_b32 s7, s34
	s_xor_b32 s35, exec_lo, s7
	s_cbranch_execz .LBB1_19
; %bb.18:                               ;   in Loop: Header=BB1_1 Depth=1
	v_mad_u64_u32 v[23:24], null, 0xfe5163ab, v25, 0
	v_cmp_lt_u32_e32 vcc_lo, 63, v26
	v_mov_b32_e32 v0, v24
	v_cndmask_b32_e64 v24, 0, 0xffffffc0, vcc_lo
	v_mad_u64_u32 v[27:28], null, 0x3c439041, v25, v[0:1]
	v_add_nc_u32_e32 v24, v24, v26
	v_cmp_lt_u32_e64 s7, 31, v24
	v_mov_b32_e32 v0, v28
	v_cndmask_b32_e64 v33, 0, 0xffffffe0, s7
	v_mad_u64_u32 v[28:29], null, 0xdb629599, v25, v[0:1]
	v_add_nc_u32_e32 v24, v33, v24
	v_mov_b32_e32 v0, v29
	v_cmp_lt_u32_e64 s8, 31, v24
	v_cndmask_b32_e32 v23, v28, v23, vcc_lo
	v_mad_u64_u32 v[29:30], null, 0xf534ddc0, v25, v[0:1]
	v_mov_b32_e32 v0, v30
	v_mad_u64_u32 v[30:31], null, 0xfc2757d1, v25, v[0:1]
	v_mov_b32_e32 v0, v31
	;; [unrolled: 2-line block ×3, first 2 shown]
	v_cndmask_b32_e32 v34, v31, v29, vcc_lo
	v_mad_u64_u32 v[32:33], null, 0xa2f9836e, v25, v[0:1]
	v_cndmask_b32_e64 v0, 0, 0xffffffe0, s8
	v_add_nc_u32_e32 v0, v0, v24
	v_cndmask_b32_e32 v32, v32, v30, vcc_lo
	v_cndmask_b32_e32 v31, v33, v31, vcc_lo
	;; [unrolled: 1-line block ×4, first 2 shown]
	v_cmp_eq_u32_e32 vcc_lo, 0, v0
	v_cndmask_b32_e64 v27, v32, v34, s7
	v_cndmask_b32_e64 v29, v31, v32, s7
	;; [unrolled: 1-line block ×3, first 2 shown]
	v_sub_nc_u32_e32 v32, 32, v0
	v_cndmask_b32_e64 v30, v30, v24, s7
	v_cndmask_b32_e64 v23, v24, v23, s7
	;; [unrolled: 1-line block ×6, first 2 shown]
	v_alignbit_b32 v33, v29, v27, v32
	v_alignbit_b32 v28, v27, v31, v32
	;; [unrolled: 1-line block ×3, first 2 shown]
	v_cndmask_b32_e32 v0, v33, v29, vcc_lo
	v_cndmask_b32_e32 v24, v28, v27, vcc_lo
	;; [unrolled: 1-line block ×3, first 2 shown]
	v_bfe_u32 v27, v0, 29, 1
	v_alignbit_b32 v28, v0, v24, 30
	v_alignbit_b32 v24, v24, v30, 30
	;; [unrolled: 1-line block ×3, first 2 shown]
	v_sub_nc_u32_e32 v29, 0, v27
	v_xor_b32_e32 v28, v28, v29
	v_xor_b32_e32 v24, v24, v29
	;; [unrolled: 1-line block ×3, first 2 shown]
	v_lshrrev_b32_e32 v29, 29, v0
	v_lshrrev_b32_e32 v0, 30, v0
	v_ffbh_u32_e32 v31, v28
	v_min_u32_e32 v31, 32, v31
	v_sub_nc_u32_e32 v30, 31, v31
	v_lshlrev_b32_e32 v32, 23, v31
	v_alignbit_b32 v28, v28, v24, v30
	v_alignbit_b32 v23, v24, v23, v30
	v_lshlrev_b32_e32 v24, 31, v29
	v_alignbit_b32 v29, v28, v23, 9
	v_or_b32_e32 v30, 0.5, v24
	v_lshrrev_b32_e32 v28, 9, v28
	v_or_b32_e32 v24, 0x33000000, v24
	v_ffbh_u32_e32 v33, v29
	v_sub_nc_u32_e32 v30, v30, v32
	v_min_u32_e32 v32, 32, v33
	v_or_b32_e32 v28, v28, v30
	v_not_b32_e32 v30, v32
	v_mul_f32_e32 v33, 0x3fc90fda, v28
	v_add_lshl_u32 v31, v32, v31, 23
	v_alignbit_b32 v23, v29, v23, v30
	v_fma_f32 v29, 0x3fc90fda, v28, -v33
	v_sub_nc_u32_e32 v24, v24, v31
	v_lshrrev_b32_e32 v23, 9, v23
	v_fmac_f32_e32 v29, 0x33a22168, v28
	v_or_b32_e32 v23, v24, v23
	v_add_nc_u32_e32 v24, v27, v0
	v_fmac_f32_e32 v29, 0x3fc90fda, v23
	v_add_f32_e32 v23, v33, v29
.LBB1_19:                               ;   in Loop: Header=BB1_1 Depth=1
	s_or_saveexec_b32 s7, s35
	v_mul_f32_e64 v0, 0x3f22f983, |v20|
	v_rndne_f32_e32 v28, v0
	s_xor_b32 exec_lo, exec_lo, s7
; %bb.20:                               ;   in Loop: Header=BB1_1 Depth=1
	v_fma_f32 v23, 0xbfc90fda, v28, |v20|
	v_cvt_i32_f32_e32 v24, v28
	v_fmac_f32_e32 v23, 0xb3a22168, v28
	v_fmac_f32_e32 v23, 0xa7c234c4, v28
; %bb.21:                               ;   in Loop: Header=BB1_1 Depth=1
	s_or_b32 exec_lo, exec_lo, s7
                                        ; implicit-def: $vgpr27
                                        ; implicit-def: $vgpr0
	s_and_saveexec_b32 s7, s34
	s_xor_b32 s34, exec_lo, s7
	s_cbranch_execz .LBB1_23
; %bb.22:                               ;   in Loop: Header=BB1_1 Depth=1
	v_mad_u64_u32 v[27:28], null, 0xfe5163ab, v25, 0
	v_cmp_lt_u32_e32 vcc_lo, 63, v26
	v_cndmask_b32_e64 v33, 0, 0xffffffc0, vcc_lo
	v_mov_b32_e32 v0, v28
	v_add_nc_u32_e32 v26, v33, v26
	v_mad_u64_u32 v[28:29], null, 0x3c439041, v25, v[0:1]
	v_cmp_lt_u32_e64 s7, 31, v26
	v_mov_b32_e32 v0, v29
	v_cndmask_b32_e64 v34, 0, 0xffffffe0, s7
	v_mad_u64_u32 v[29:30], null, 0xdb629599, v25, v[0:1]
	v_mov_b32_e32 v0, v30
	v_cndmask_b32_e32 v27, v29, v27, vcc_lo
	v_mad_u64_u32 v[30:31], null, 0xf534ddc0, v25, v[0:1]
	v_mov_b32_e32 v0, v31
	v_cndmask_b32_e32 v28, v30, v28, vcc_lo
	v_mad_u64_u32 v[31:32], null, 0xfc2757d1, v25, v[0:1]
	v_mov_b32_e32 v0, v32
	v_mad_u64_u32 v[32:33], null, 0x4e441529, v25, v[0:1]
	v_mov_b32_e32 v0, v33
	v_add_nc_u32_e32 v33, v34, v26
	v_cndmask_b32_e32 v34, v32, v30, vcc_lo
	v_mad_u64_u32 v[25:26], null, 0xa2f9836e, v25, v[0:1]
	v_cmp_lt_u32_e64 s8, 31, v33
	v_cndmask_b32_e64 v0, 0, 0xffffffe0, s8
	v_cndmask_b32_e32 v25, v25, v31, vcc_lo
	v_cndmask_b32_e32 v26, v26, v32, vcc_lo
	;; [unrolled: 1-line block ×3, first 2 shown]
	v_add_nc_u32_e32 v0, v0, v33
	v_cndmask_b32_e64 v30, v25, v34, s7
	v_cndmask_b32_e64 v25, v26, v25, s7
	;; [unrolled: 1-line block ×4, first 2 shown]
	v_sub_nc_u32_e32 v32, 32, v0
	v_cmp_eq_u32_e32 vcc_lo, 0, v0
	v_cndmask_b32_e64 v25, v25, v30, s8
	v_cndmask_b32_e64 v30, v30, v26, s8
	;; [unrolled: 1-line block ×3, first 2 shown]
	v_alignbit_b32 v33, v25, v30, v32
	v_alignbit_b32 v29, v30, v26, v32
	v_cndmask_b32_e32 v0, v33, v25, vcc_lo
	v_cndmask_b32_e64 v25, v28, v27, s7
	v_cndmask_b32_e32 v27, v29, v30, vcc_lo
	v_bfe_u32 v28, v0, 29, 1
	v_cndmask_b32_e64 v25, v31, v25, s8
	v_alignbit_b32 v29, v0, v27, 30
	v_sub_nc_u32_e32 v30, 0, v28
	v_alignbit_b32 v31, v26, v25, v32
	v_xor_b32_e32 v29, v29, v30
	v_cndmask_b32_e32 v26, v31, v26, vcc_lo
	v_ffbh_u32_e32 v31, v29
	v_alignbit_b32 v27, v27, v26, 30
	v_alignbit_b32 v25, v26, v25, 30
	v_min_u32_e32 v31, 32, v31
	v_xor_b32_e32 v26, v27, v30
	v_xor_b32_e32 v25, v25, v30
	v_lshrrev_b32_e32 v30, 29, v0
	v_sub_nc_u32_e32 v27, 31, v31
	v_lshlrev_b32_e32 v32, 23, v31
	v_alignbit_b32 v29, v29, v26, v27
	v_alignbit_b32 v25, v26, v25, v27
	v_lshlrev_b32_e32 v26, 31, v30
	v_alignbit_b32 v27, v29, v25, 9
	v_or_b32_e32 v30, 0.5, v26
	v_lshrrev_b32_e32 v29, 9, v29
	v_or_b32_e32 v26, 0x33000000, v26
	v_ffbh_u32_e32 v33, v27
	v_sub_nc_u32_e32 v30, v30, v32
	v_min_u32_e32 v32, 32, v33
	v_or_b32_e32 v29, v29, v30
	v_not_b32_e32 v30, v32
	v_mul_f32_e32 v33, 0x3fc90fda, v29
	v_add_lshl_u32 v31, v32, v31, 23
	v_alignbit_b32 v25, v27, v25, v30
	v_fma_f32 v27, 0x3fc90fda, v29, -v33
	v_sub_nc_u32_e32 v26, v26, v31
	v_lshrrev_b32_e32 v25, 9, v25
	v_fmac_f32_e32 v27, 0x33a22168, v29
	v_or_b32_e32 v25, v26, v25
	v_fmac_f32_e32 v27, 0x3fc90fda, v25
	v_lshrrev_b32_e32 v25, 30, v0
	v_add_f32_e32 v0, v33, v27
	v_add_nc_u32_e32 v27, v28, v25
                                        ; implicit-def: $vgpr28
	s_andn2_saveexec_b32 s7, s34
	s_cbranch_execnz .LBB1_24
	s_branch .LBB1_25
.LBB1_23:                               ;   in Loop: Header=BB1_1 Depth=1
	s_andn2_saveexec_b32 s7, s34
.LBB1_24:                               ;   in Loop: Header=BB1_1 Depth=1
	v_fma_f32 v0, 0xbfc90fda, v28, |v20|
	v_cvt_i32_f32_e32 v27, v28
	v_fmac_f32_e32 v0, 0xb3a22168, v28
	v_fmac_f32_e32 v0, 0xa7c234c4, v28
.LBB1_25:                               ;   in Loop: Header=BB1_1 Depth=1
	s_or_b32 exec_lo, exec_lo, s7
	v_add_co_u32 v25, vcc_lo, s26, v2
	v_add_co_ci_u32_e64 v26, null, s27, v3, vcc_lo
	v_add_co_u32 v28, vcc_lo, s28, v2
	v_add_co_ci_u32_e64 v29, null, s29, v3, vcc_lo
	;; [unrolled: 2-line block ×3, first 2 shown]
	global_load_dword v25, v[25:26], off
	global_load_dword v26, v[28:29], off
	;; [unrolled: 1-line block ×3, first 2 shown]
	v_mul_f32_e32 v3, v23, v23
	v_mul_f32_e32 v29, v19, v19
	;; [unrolled: 1-line block ×3, first 2 shown]
	s_xor_b32 s34, s13, -1
	v_and_b32_e32 v28, 1, v24
	v_fmaak_f32 v40, s11, v3, 0x3c0881c4
	v_fmaak_f32 v41, s12, v3, 0xbab64f3b
	;; [unrolled: 1-line block ×4, first 2 shown]
	v_mul_f32_e32 v33, v13, v13
	v_fmaak_f32 v40, v3, v40, 0xbe2aaa9d
	v_fmaak_f32 v41, v3, v41, 0x3d2aabf7
	;; [unrolled: 1-line block ×6, first 2 shown]
	v_mul_f32_e32 v40, v3, v40
	v_fmaak_f32 v41, v3, v41, 0xbf000004
	s_cmp_lg_u32 s14, 0
	v_and_b32_e32 v30, 1, v21
	s_cselect_b32 vcc_lo, -1, 0
	v_mul_f32_e32 v35, v11, v11
	v_cndmask_b32_e32 v6, 0, v6, vcc_lo
	v_fmaak_f32 v46, s11, v33, 0x3c0881c4
	v_fmaak_f32 v47, s12, v33, 0xbab64f3b
	;; [unrolled: 1-line block ×4, first 2 shown]
	v_mul_f32_e32 v42, v29, v42
	v_fmaak_f32 v43, v29, v43, 0xbf000004
	v_fmac_f32_e32 v23, v23, v40
	v_fma_f32 v3, v3, v41, 1.0
	v_cmp_eq_u32_e32 vcc_lo, 0, v28
	v_and_b32_e32 v32, 1, v18
	v_mul_f32_e32 v37, v0, v0
	v_fmaak_f32 v48, s11, v35, 0x3c0881c4
	v_fmaak_f32 v49, s12, v35, 0xbab64f3b
	v_fmaak_f32 v46, v33, v46, 0xbe2aaa9d
	v_fmaak_f32 v47, v33, v47, 0x3d2aabf7
	v_mul_f32_e32 v44, v31, v44
	v_fmaak_f32 v45, v31, v45, 0xbf000004
	v_fmac_f32_e32 v19, v19, v42
	v_fma_f32 v29, v29, v43, 1.0
	v_cndmask_b32_e32 v3, v3, v23, vcc_lo
	v_cmp_eq_u32_e32 vcc_lo, 0, v30
	v_and_b32_e32 v34, 1, v15
	v_fmaak_f32 v50, s11, v37, 0x3c0881c4
	v_fmaak_f32 v51, s12, v37, 0xbab64f3b
	;; [unrolled: 1-line block ×4, first 2 shown]
	v_mul_f32_e32 v46, v33, v46
	v_fmaak_f32 v47, v33, v47, 0xbf000004
	v_fmac_f32_e32 v17, v17, v44
	v_fma_f32 v31, v31, v45, 1.0
	v_cndmask_b32_e64 v19, -v19, v29, vcc_lo
	v_cmp_eq_u32_e32 vcc_lo, 0, v32
	v_and_b32_e32 v36, 1, v12
	v_fmaak_f32 v50, v37, v50, 0xbe2aaa9d
	v_fmaak_f32 v51, v37, v51, 0x3d2aabf7
	v_mul_f32_e32 v48, v35, v48
	v_fmaak_f32 v49, v35, v49, 0xbf000004
	v_fmac_f32_e32 v13, v13, v46
	v_fma_f32 v33, v33, v47, 1.0
	v_cndmask_b32_e32 v17, v31, v17, vcc_lo
	v_cmp_eq_u32_e32 vcc_lo, 0, v34
	v_and_b32_e32 v38, 1, v27
	v_mul_f32_e32 v50, v37, v50
	v_fmaak_f32 v51, v37, v51, 0xbf000004
	v_fmac_f32_e32 v11, v11, v48
	v_fma_f32 v35, v35, v49, 1.0
	v_cndmask_b32_e64 v13, -v13, v33, vcc_lo
	v_cmp_eq_u32_e32 vcc_lo, 0, v36
	v_lshlrev_b32_e32 v24, 30, v24
	v_lshlrev_b32_e32 v18, 30, v18
	;; [unrolled: 1-line block ×5, first 2 shown]
	v_fmac_f32_e32 v0, v0, v50
	v_fma_f32 v37, v37, v51, 1.0
	v_cndmask_b32_e32 v11, v35, v11, vcc_lo
	v_cmp_eq_u32_e32 vcc_lo, 0, v38
	v_lshlrev_b32_e32 v21, 30, v21
	v_xor_b32_e32 v22, v22, v20
	v_xor_b32_e32 v16, v16, v14
	;; [unrolled: 1-line block ×3, first 2 shown]
	v_and_b32_e32 v24, 0x80000000, v24
	v_and_b32_e32 v18, 0x80000000, v18
	;; [unrolled: 1-line block ×5, first 2 shown]
	v_cndmask_b32_e64 v0, -v0, v37, vcc_lo
	v_and_b32_e32 v21, 0x80000000, v21
	v_xor3_b32 v3, v22, v24, v3
	v_cmp_class_f32_e64 vcc_lo, v14, 0x1f8
	v_xor3_b32 v14, v16, v18, v17
	v_xor_b32_e32 v13, v15, v13
	v_cmp_class_f32_e64 s7, v9, 0x1f8
	v_xor3_b32 v9, v10, v12, v11
	v_cmp_class_f32_e64 s8, v20, 0x1f8
	v_xor_b32_e32 v0, v27, v0
	v_xor_b32_e32 v19, v21, v19
	v_cndmask_b32_e32 v11, 0x7fc00000, v14, vcc_lo
	v_cndmask_b32_e64 v12, 0x7fc00000, v13, s7
	v_cndmask_b32_e64 v3, 0x7fc00000, v3, s8
	;; [unrolled: 1-line block ×4, first 2 shown]
	v_cndmask_b32_e32 v10, 0x7fc00000, v19, vcc_lo
	v_mul_f32_e32 v16, v12, v11
	v_mul_f32_e32 v15, v12, v3
	;; [unrolled: 1-line block ×3, first 2 shown]
	s_cmp_lg_u32 s14, 1
	v_mul_f32_e32 v18, v12, v0
	v_mov_b32_e32 v39, s15
	s_cselect_b32 vcc_lo, -1, 0
	v_mul_f32_e32 v13, v10, v0
	v_mul_f32_e32 v19, v9, v0
	;; [unrolled: 1-line block ×5, first 2 shown]
	v_fma_f32 v12, v14, v0, -v15
	v_mul_f32_e32 v0, v16, v0
	v_cndmask_b32_e32 v7, 0, v7, vcc_lo
	v_xor_b32_e32 v11, 0x80000000, v11
	v_fmac_f32_e32 v18, v14, v3
	s_mov_b32 s13, 0
	s_andn2_b32 vcc_lo, exec_lo, s34
	buffer_store_dword v13, v39, s[0:3], 0 offen
	v_fma_f32 v13, v16, v3, -v19
	v_fmac_f32_e32 v0, v9, v3
	buffer_store_dword v17, v39, s[0:3], 0 offen offset:16
	buffer_store_dword v11, v39, s[0:3], 0 offen offset:32
	buffer_store_dword v20, v39, s[0:3], 0 offen offset:36
	buffer_store_dword v10, v39, s[0:3], 0 offen offset:40
	buffer_store_dword v12, v39, s[0:3], 0 offen offset:4
	buffer_store_dword v18, v39, s[0:3], 0 offen offset:20
	buffer_store_dword v13, v39, s[0:3], 0 offen offset:24
	buffer_store_dword v0, v39, s[0:3], 0 offen offset:8
	s_waitcnt vmcnt(2)
	buffer_store_dword v25, v39, s[0:3], 0 offen offset:12
	s_waitcnt vmcnt(1)
	buffer_store_dword v26, v39, s[0:3], 0 offen offset:28
	;; [unrolled: 2-line block ×3, first 2 shown]
	s_cbranch_vccz .LBB1_27
; %bb.26:                               ;   in Loop: Header=BB1_1 Depth=1
	s_mov_b32 s15, s9
	s_mov_b32 s14, 1
	s_branch .LBB1_1
.LBB1_27:
	s_clause 0x17
	buffer_load_dword v5, off, s[0:3], 0
	buffer_load_dword v8, off, s[0:3], 0 offset:4
	buffer_load_dword v9, off, s[0:3], 0 offset:8
	;; [unrolled: 1-line block ×23, first 2 shown]
	s_clause 0x1
	s_load_dwordx2 s[8:9], s[4:5], 0x0
	s_load_dwordx4 s[20:23], s[4:5], 0x48
	v_mov_b32_e32 v31, 0
	s_mov_b32 s25, 0
	s_mov_b32 s24, s25
	s_waitcnt lgkmcnt(0)
	s_max_i32 s28, s9, 1
	s_max_i32 s29, s8, 1
	s_add_u32 s16, s16, 8
	s_addc_u32 s17, s17, 0
.LBB1_28:                               ; =>This Loop Header: Depth=1
                                        ;     Child Loop BB1_29 Depth 2
	s_lshl_b64 s[4:5], s[24:25], 4
	s_mov_b32 s30, s28
	s_add_u32 s4, s18, s4
	s_addc_u32 s5, s19, s5
	s_mov_b64 s[26:27], s[16:17]
	global_load_dwordx4 v[37:40], v31, s[4:5]
	s_waitcnt vmcnt(0)
	v_ashrrev_i32_e32 v1, 31, v40
	v_mov_b32_e32 v0, v40
	v_fma_f32 v32, v37, v5, v10
	v_fma_f32 v33, v37, v11, v14
	;; [unrolled: 1-line block ×4, first 2 shown]
	v_lshlrev_b64 v[0:1], 4, v[0:1]
	v_fma_f32 v36, v37, v24, v23
	v_fma_f32 v37, v37, v27, v26
	v_fmac_f32_e32 v32, v38, v8
	v_fmac_f32_e32 v33, v38, v12
	;; [unrolled: 1-line block ×3, first 2 shown]
	v_add_co_u32 v0, vcc_lo, s22, v0
	v_add_co_ci_u32_e64 v1, null, s23, v1, vcc_lo
	v_fmac_f32_e32 v35, v38, v20
	v_fmac_f32_e32 v36, v38, v25
	;; [unrolled: 1-line block ×3, first 2 shown]
	global_load_dwordx4 v[0:3], v[0:1], off
	v_fmac_f32_e32 v32, v39, v9
	v_fmac_f32_e32 v33, v39, v13
	;; [unrolled: 1-line block ×6, first 2 shown]
	s_waitcnt vmcnt(0)
	v_cmp_gt_f32_e64 s4, 0, v2
	v_cmp_lt_f32_e64 s5, 0, v2
	v_cmp_eq_u32_e64 s7, 0x46, v0
	v_cmp_eq_u32_e64 s8, 0x45, v0
	v_cndmask_b32_e64 v0, 1.0, 0x40b00000, s4
	v_cndmask_b32_e64 v38, 0xff7fffff, 1.0, s4
.LBB1_29:                               ;   Parent Loop BB1_28 Depth=1
                                        ; =>  This Inner Loop Header: Depth=2
	global_load_dwordx4 v[39:42], v31, s[26:27] offset:-8
	s_waitcnt vmcnt(0)
	v_ashrrev_i32_e32 v43, 31, v42
	v_sub_f32_e32 v47, v33, v40
	v_sub_f32_e32 v46, v32, v39
	;; [unrolled: 1-line block ×4, first 2 shown]
	v_lshlrev_b64 v[42:43], 4, v[42:43]
	v_mul_f32_e32 v47, v47, v47
	v_sub_f32_e32 v39, v35, v39
	v_mul_f32_e32 v40, v40, v40
	v_sub_f32_e32 v41, v37, v41
	v_fmac_f32_e32 v47, v46, v46
	v_add_co_u32 v42, vcc_lo, s22, v42
	v_add_co_ci_u32_e64 v43, null, s23, v43, vcc_lo
	v_fmac_f32_e32 v40, v39, v39
	v_fmac_f32_e32 v47, v48, v48
	global_load_dwordx4 v[42:45], v[42:43], off
	v_fmac_f32_e32 v40, v41, v41
	v_mul_f32_e32 v39, 0x4f800000, v47
	v_cmp_gt_f32_e64 s9, 0xf800000, v47
	v_mul_f32_e32 v41, 0x4f800000, v40
	v_cmp_gt_f32_e32 vcc_lo, 0xf800000, v40
	v_cndmask_b32_e64 v39, v47, v39, s9
	v_cndmask_b32_e32 v40, v40, v41, vcc_lo
	v_sqrt_f32_e32 v41, v39
	v_sqrt_f32_e32 v46, v40
	v_add_nc_u32_e32 v47, -1, v41
	v_add_nc_u32_e32 v49, 1, v41
	v_add_nc_u32_e32 v48, -1, v46
	v_fma_f32 v51, -v47, v41, v39
	v_add_nc_u32_e32 v50, 1, v46
	v_fma_f32 v53, -v49, v41, v39
	v_fma_f32 v52, -v48, v46, v40
	v_cmp_ge_f32_e64 s10, 0, v51
	v_fma_f32 v54, -v50, v46, v40
	v_cmp_lt_f32_e64 s11, 0, v53
	v_cndmask_b32_e64 v41, v41, v47, s10
	v_cmp_ge_f32_e64 s10, 0, v52
	v_cndmask_b32_e64 v41, v41, v49, s11
	v_cndmask_b32_e64 v46, v46, v48, s10
	v_cmp_lt_f32_e64 s10, 0, v54
	v_mul_f32_e32 v47, 0x37800000, v41
	v_cndmask_b32_e64 v46, v46, v50, s10
	v_cndmask_b32_e64 v41, v41, v47, s9
	v_cmp_class_f32_e64 s9, v39, 0x260
	v_mul_f32_e32 v48, 0x37800000, v46
	v_cndmask_b32_e64 v39, v41, v39, s9
	v_cndmask_b32_e32 v46, v46, v48, vcc_lo
	v_cmp_class_f32_e64 vcc_lo, v40, 0x260
	v_cndmask_b32_e32 v40, v46, v40, vcc_lo
	s_waitcnt vmcnt(0)
	v_add_f32_e32 v41, v1, v43
	v_cmp_gt_f32_e64 s12, 0, v44
	v_cmp_eq_u32_e32 vcc_lo, 0x46, v42
	v_cmp_eq_u32_e64 s9, 0x45, v42
	v_mul_f32_e32 v43, v3, v45
	v_div_scale_f32 v45, null, v41, v41, 1.0
	v_cndmask_b32_e64 v42, v38, v0, s12
	s_and_b32 s14, vcc_lo, s7
	v_sub_f32_e32 v51, v39, v41
	v_cndmask_b32_e64 v47, 2.0, 4.0, s14
	v_sub_f32_e32 v52, v40, v41
	v_div_scale_f32 v49, null, v42, v42, 1.0
	v_cndmask_b32_e64 v53, 0.5, 0x3e800000, s14
	v_rcp_f32_e32 v54, v45
	s_and_b32 s12, s12, s5
	v_cmp_lt_f32_e64 s10, 0, v44
	v_cmp_neq_f32_e64 s11, 0, v44
	v_cndmask_b32_e64 v44, v44, -v44, s12
	v_rcp_f32_e32 v55, v49
	v_cmp_gt_f32_e64 s12, 0, v51
	v_cmp_lt_f32_e32 vcc_lo, v51, v47
	v_cmp_gt_f32_e64 s14, 0, v52
	v_cmp_lt_f32_e64 s15, v52, v47
	v_fma_f32 v58, -v53, v51, 1.0
	v_fma_f32 v53, -v53, v52, 1.0
	v_cndmask_b32_e64 v56, 0, 1.0, vcc_lo
	v_fma_f32 v61, -v45, v54, 1.0
	v_cndmask_b32_e64 v47, 0, 1.0, s15
	v_cndmask_b32_e64 v58, v58, 1.0, s12
	;; [unrolled: 1-line block ×3, first 2 shown]
	v_div_scale_f32 v46, s13, 1.0, v41, 1.0
	v_fma_f32 v62, -v49, v55, 1.0
	v_mul_f32_e32 v56, v56, v58
	v_mul_f32_e32 v47, v47, v53
	v_fmac_f32_e32 v54, v61, v54
	s_and_b32 s10, s10, s4
	v_fmac_f32_e32 v55, v62, v55
	v_cndmask_b32_e64 v48, v2, -v2, s10
	v_div_scale_f32 v50, s10, 1.0, v42, 1.0
	v_mul_f32_e32 v53, v43, v56
	v_mul_f32_e32 v43, v43, v47
	;; [unrolled: 1-line block ×4, first 2 shown]
	v_cmp_lt_f32_e32 vcc_lo, v51, v42
	v_cmp_lt_f32_e64 s15, v52, v42
	v_add_f32_e32 v44, v44, v48
	v_fma_f32 v58, -v45, v47, v46
	v_fma_f32 v61, -v49, v56, v50
	s_and_b32 s31, s11, vcc_lo
	s_mov_b32 vcc_lo, s13
	v_cndmask_b32_e64 v48, 0, 0x42980000, s12
	v_fmac_f32_e32 v47, v58, v54
	v_fmac_f32_e32 v56, v61, v55
	v_cndmask_b32_e64 v57, 0, 0x42980000, s14
	s_and_b32 s11, s11, s15
	s_or_b32 s9, s9, s8
	v_fma_f32 v45, -v45, v47, v46
	v_fma_f32 v46, -v49, v56, v50
	v_cndmask_b32_e64 v59, 0, 1.0, s31
	v_cndmask_b32_e64 v60, 0, 1.0, s11
	s_add_u32 s26, s26, 16
	v_div_fmas_f32 v45, v45, v54, v47
	s_mov_b32 vcc_lo, s10
	v_mul_f32_e32 v59, v44, v59
	v_div_fmas_f32 v46, v46, v55, v56
	s_addc_u32 s27, s27, 0
	v_div_fixup_f32 v41, v45, v41, 1.0
	v_cndmask_b32_e64 v45, v53, -|v53|, s9
	s_add_i32 s30, s30, -1
	v_div_fixup_f32 v42, v46, v42, 1.0
	s_cmp_lg_u32 s30, 0
	v_fma_f32 v39, -v41, v39, 1.0
	v_fma_f32 v40, -v41, v40, 1.0
	v_cndmask_b32_e64 v41, v43, -|v43|, s9
	v_fma_f32 v43, -v42, v51, 1.0
	v_fma_f32 v42, -v42, v52, 1.0
	v_fmac_f32_e32 v6, v39, v48
	v_fmac_f32_e32 v7, v40, v57
	v_mul_f32_e32 v39, v44, v60
	v_cndmask_b32_e64 v40, v43, 1.0, s12
	v_cndmask_b32_e64 v42, v42, 1.0, s14
	v_fmac_f32_e32 v6, 0x42340000, v45
	v_fmac_f32_e32 v7, 0x42340000, v41
	;; [unrolled: 1-line block ×4, first 2 shown]
	s_cbranch_scc1 .LBB1_29
; %bb.30:                               ;   in Loop: Header=BB1_28 Depth=1
	s_add_i32 s24, s24, 1
	s_cmp_lg_u32 s24, s29
	s_cbranch_scc1 .LBB1_28
; %bb.31:
	s_and_saveexec_b32 s4, s6
	s_cbranch_execz .LBB1_33
; %bb.32:
	v_mov_b32_e32 v5, 0
	v_mul_f32_e32 v6, 0.5, v6
	v_mul_f32_e32 v7, 0.5, v7
	v_lshlrev_b64 v[0:1], 2, v[4:5]
	v_add_nc_u32_e32 v4, s33, v4
	v_lshlrev_b64 v[2:3], 2, v[4:5]
	v_add_co_u32 v0, vcc_lo, s20, v0
	v_add_co_ci_u32_e64 v1, null, s21, v1, vcc_lo
	v_add_co_u32 v2, vcc_lo, s20, v2
	v_add_co_ci_u32_e64 v3, null, s21, v3, vcc_lo
	global_store_dword v[0:1], v6, off
	global_store_dword v[2:3], v7, off
.LBB1_33:
	s_endpgm
	.section	.rodata,"a",@progbits
	.p2align	6, 0x0
	.amdhsa_kernel _ZL11fasten_mainILm2EEviiPK4AtomS2_PKfS4_S4_S4_S4_S4_PfPK8FFParamsi
		.amdhsa_group_segment_fixed_size 0
		.amdhsa_private_segment_fixed_size 112
		.amdhsa_kernarg_size 352
		.amdhsa_user_sgpr_count 6
		.amdhsa_user_sgpr_private_segment_buffer 1
		.amdhsa_user_sgpr_dispatch_ptr 0
		.amdhsa_user_sgpr_queue_ptr 0
		.amdhsa_user_sgpr_kernarg_segment_ptr 1
		.amdhsa_user_sgpr_dispatch_id 0
		.amdhsa_user_sgpr_flat_scratch_init 0
		.amdhsa_user_sgpr_private_segment_size 0
		.amdhsa_wavefront_size32 1
		.amdhsa_uses_dynamic_stack 0
		.amdhsa_system_sgpr_private_segment_wavefront_offset 1
		.amdhsa_system_sgpr_workgroup_id_x 1
		.amdhsa_system_sgpr_workgroup_id_y 0
		.amdhsa_system_sgpr_workgroup_id_z 0
		.amdhsa_system_sgpr_workgroup_info 0
		.amdhsa_system_vgpr_workitem_id 0
		.amdhsa_next_free_vgpr 63
		.amdhsa_next_free_sgpr 36
		.amdhsa_reserve_vcc 1
		.amdhsa_reserve_flat_scratch 0
		.amdhsa_float_round_mode_32 0
		.amdhsa_float_round_mode_16_64 0
		.amdhsa_float_denorm_mode_32 3
		.amdhsa_float_denorm_mode_16_64 3
		.amdhsa_dx10_clamp 1
		.amdhsa_ieee_mode 1
		.amdhsa_fp16_overflow 0
		.amdhsa_workgroup_processor_mode 1
		.amdhsa_memory_ordered 1
		.amdhsa_forward_progress 1
		.amdhsa_shared_vgpr_count 0
		.amdhsa_exception_fp_ieee_invalid_op 0
		.amdhsa_exception_fp_denorm_src 0
		.amdhsa_exception_fp_ieee_div_zero 0
		.amdhsa_exception_fp_ieee_overflow 0
		.amdhsa_exception_fp_ieee_underflow 0
		.amdhsa_exception_fp_ieee_inexact 0
		.amdhsa_exception_int_div_zero 0
	.end_amdhsa_kernel
	.section	.text._ZL11fasten_mainILm2EEviiPK4AtomS2_PKfS4_S4_S4_S4_S4_PfPK8FFParamsi,"axG",@progbits,_ZL11fasten_mainILm2EEviiPK4AtomS2_PKfS4_S4_S4_S4_S4_PfPK8FFParamsi,comdat
.Lfunc_end1:
	.size	_ZL11fasten_mainILm2EEviiPK4AtomS2_PKfS4_S4_S4_S4_S4_PfPK8FFParamsi, .Lfunc_end1-_ZL11fasten_mainILm2EEviiPK4AtomS2_PKfS4_S4_S4_S4_S4_PfPK8FFParamsi
                                        ; -- End function
	.set _ZL11fasten_mainILm2EEviiPK4AtomS2_PKfS4_S4_S4_S4_S4_PfPK8FFParamsi.num_vgpr, 63
	.set _ZL11fasten_mainILm2EEviiPK4AtomS2_PKfS4_S4_S4_S4_S4_PfPK8FFParamsi.num_agpr, 0
	.set _ZL11fasten_mainILm2EEviiPK4AtomS2_PKfS4_S4_S4_S4_S4_PfPK8FFParamsi.numbered_sgpr, 36
	.set _ZL11fasten_mainILm2EEviiPK4AtomS2_PKfS4_S4_S4_S4_S4_PfPK8FFParamsi.num_named_barrier, 0
	.set _ZL11fasten_mainILm2EEviiPK4AtomS2_PKfS4_S4_S4_S4_S4_PfPK8FFParamsi.private_seg_size, 112
	.set _ZL11fasten_mainILm2EEviiPK4AtomS2_PKfS4_S4_S4_S4_S4_PfPK8FFParamsi.uses_vcc, 1
	.set _ZL11fasten_mainILm2EEviiPK4AtomS2_PKfS4_S4_S4_S4_S4_PfPK8FFParamsi.uses_flat_scratch, 0
	.set _ZL11fasten_mainILm2EEviiPK4AtomS2_PKfS4_S4_S4_S4_S4_PfPK8FFParamsi.has_dyn_sized_stack, 0
	.set _ZL11fasten_mainILm2EEviiPK4AtomS2_PKfS4_S4_S4_S4_S4_PfPK8FFParamsi.has_recursion, 0
	.set _ZL11fasten_mainILm2EEviiPK4AtomS2_PKfS4_S4_S4_S4_S4_PfPK8FFParamsi.has_indirect_call, 0
	.section	.AMDGPU.csdata,"",@progbits
; Kernel info:
; codeLenInByte = 6376
; TotalNumSgprs: 38
; NumVgprs: 63
; ScratchSize: 112
; MemoryBound: 0
; FloatMode: 240
; IeeeMode: 1
; LDSByteSize: 0 bytes/workgroup (compile time only)
; SGPRBlocks: 0
; VGPRBlocks: 7
; NumSGPRsForWavesPerEU: 38
; NumVGPRsForWavesPerEU: 63
; Occupancy: 16
; WaveLimiterHint : 1
; COMPUTE_PGM_RSRC2:SCRATCH_EN: 1
; COMPUTE_PGM_RSRC2:USER_SGPR: 6
; COMPUTE_PGM_RSRC2:TRAP_HANDLER: 0
; COMPUTE_PGM_RSRC2:TGID_X_EN: 1
; COMPUTE_PGM_RSRC2:TGID_Y_EN: 0
; COMPUTE_PGM_RSRC2:TGID_Z_EN: 0
; COMPUTE_PGM_RSRC2:TIDIG_COMP_CNT: 0
	.section	.text._ZL11fasten_mainILm4EEviiPK4AtomS2_PKfS4_S4_S4_S4_S4_PfPK8FFParamsi,"axG",@progbits,_ZL11fasten_mainILm4EEviiPK4AtomS2_PKfS4_S4_S4_S4_S4_PfPK8FFParamsi,comdat
	.globl	_ZL11fasten_mainILm4EEviiPK4AtomS2_PKfS4_S4_S4_S4_S4_PfPK8FFParamsi ; -- Begin function _ZL11fasten_mainILm4EEviiPK4AtomS2_PKfS4_S4_S4_S4_S4_PfPK8FFParamsi
	.p2align	8
	.type	_ZL11fasten_mainILm4EEviiPK4AtomS2_PKfS4_S4_S4_S4_S4_PfPK8FFParamsi,@function
_ZL11fasten_mainILm4EEviiPK4AtomS2_PKfS4_S4_S4_S4_S4_PfPK8FFParamsi: ; @_ZL11fasten_mainILm4EEviiPK4AtomS2_PKfS4_S4_S4_S4_S4_PfPK8FFParamsi
; %bb.0:
	s_add_u32 s0, s0, s7
	s_clause 0x1
	s_load_dword s7, s[4:5], 0x6c
	s_load_dword s8, s[4:5], 0x58
	s_addc_u32 s1, s1, 0
	s_load_dwordx16 s[36:51], s[4:5], 0x8
	v_mov_b32_e32 v3, 0
	s_mov_b32 s9, 0
	s_mov_b32 s11, 16
	s_mov_b32 s12, 0x7fffff
	s_mov_b32 s13, 0xb94c1982
	s_mov_b32 s14, 0x37d75334
	s_waitcnt lgkmcnt(0)
	s_and_b32 s33, s7, 0xffff
	s_add_i32 s7, s8, -4
	s_mul_i32 s6, s6, s33
	s_lshl_b32 s10, s33, 2
	v_lshl_add_u32 v8, s6, 2, v0
	v_cmp_gt_i32_e64 s6, s8, v8
	v_cndmask_b32_e64 v0, s7, v8, s6
	v_ashrrev_i32_e32 v1, 31, v0
	v_lshlrev_b64 v[0:1], 2, v[0:1]
	s_branch .LBB2_2
.LBB2_1:                                ;   in Loop: Header=BB2_2 Depth=1
	s_or_b32 exec_lo, exec_lo, s7
	v_add_co_u32 v21, vcc_lo, s46, v0
	v_add_co_ci_u32_e64 v22, null, s47, v1, vcc_lo
	v_add_co_u32 v24, vcc_lo, s48, v0
	v_add_co_ci_u32_e64 v25, null, s49, v1, vcc_lo
	;; [unrolled: 2-line block ×3, first 2 shown]
	global_load_dword v21, v[21:22], off
	global_load_dword v22, v[24:25], off
	;; [unrolled: 1-line block ×3, first 2 shown]
	v_mul_f32_e32 v25, v19, v19
	v_mul_f32_e32 v27, v15, v15
	;; [unrolled: 1-line block ×3, first 2 shown]
	v_and_b32_e32 v26, 1, v20
	v_mul_f32_e32 v31, v9, v9
	v_fmaak_f32 v39, s13, v25, 0x3c0881c4
	v_fmaak_f32 v40, s14, v25, 0xbab64f3b
	;; [unrolled: 1-line block ×10, first 2 shown]
	v_mul_f32_e32 v39, v25, v39
	v_fmaak_f32 v40, v25, v40, 0xbf000004
	v_and_b32_e32 v28, 1, v17
	v_mul_f32_e32 v33, v6, v6
	v_fmaak_f32 v45, s13, v31, 0x3c0881c4
	v_fmaak_f32 v46, s14, v31, 0xbab64f3b
	;; [unrolled: 1-line block ×4, first 2 shown]
	v_mul_f32_e32 v41, v27, v41
	v_fmaak_f32 v42, v27, v42, 0xbf000004
	v_fmac_f32_e32 v19, v19, v39
	v_fma_f32 v25, v25, v40, 1.0
	v_cmp_eq_u32_e32 vcc_lo, 0, v26
	v_and_b32_e32 v30, 1, v14
	v_mul_f32_e32 v35, v2, v2
	v_fmaak_f32 v47, s13, v33, 0x3c0881c4
	v_fmaak_f32 v48, s14, v33, 0xbab64f3b
	;; [unrolled: 1-line block ×4, first 2 shown]
	v_mul_f32_e32 v43, v29, v43
	v_fmaak_f32 v44, v29, v44, 0xbf000004
	v_fmac_f32_e32 v15, v15, v41
	v_fma_f32 v27, v27, v42, 1.0
	v_cndmask_b32_e32 v19, v25, v19, vcc_lo
	v_cmp_eq_u32_e32 vcc_lo, 0, v28
	v_and_b32_e32 v32, 1, v11
	v_fmaak_f32 v49, s13, v35, 0x3c0881c4
	v_fmaak_f32 v50, s14, v35, 0xbab64f3b
	;; [unrolled: 1-line block ×4, first 2 shown]
	v_mul_f32_e32 v45, v31, v45
	v_fmaak_f32 v46, v31, v46, 0xbf000004
	v_fmac_f32_e32 v13, v13, v43
	v_fma_f32 v29, v29, v44, 1.0
	v_cndmask_b32_e64 v15, -v15, v27, vcc_lo
	v_cmp_eq_u32_e32 vcc_lo, 0, v30
	v_and_b32_e32 v34, 1, v7
	v_fmaak_f32 v49, v35, v49, 0xbe2aaa9d
	v_fmaak_f32 v50, v35, v50, 0x3d2aabf7
	v_mul_f32_e32 v47, v33, v47
	v_fmaak_f32 v48, v33, v48, 0xbf000004
	v_fmac_f32_e32 v9, v9, v45
	v_fma_f32 v31, v31, v46, 1.0
	v_cndmask_b32_e32 v13, v29, v13, vcc_lo
	v_cmp_eq_u32_e32 vcc_lo, 0, v32
	v_and_b32_e32 v36, 1, v23
	v_mul_f32_e32 v49, v35, v49
	v_fmaak_f32 v50, v35, v50, 0xbf000004
	v_fmac_f32_e32 v6, v6, v47
	v_fma_f32 v33, v33, v48, 1.0
	v_cndmask_b32_e64 v9, -v9, v31, vcc_lo
	v_cmp_eq_u32_e32 vcc_lo, 0, v34
	v_lshlrev_b32_e32 v20, 30, v20
	v_lshlrev_b32_e32 v14, 30, v14
	;; [unrolled: 1-line block ×5, first 2 shown]
	v_fmac_f32_e32 v2, v2, v49
	v_fma_f32 v35, v35, v50, 1.0
	v_cndmask_b32_e32 v6, v33, v6, vcc_lo
	v_cmp_eq_u32_e32 vcc_lo, 0, v36
	v_lshlrev_b32_e32 v17, 30, v17
	v_xor_b32_e32 v18, v18, v16
	v_xor_b32_e32 v12, v12, v10
	;; [unrolled: 1-line block ×3, first 2 shown]
	v_and_b32_e32 v20, 0x80000000, v20
	v_and_b32_e32 v14, 0x80000000, v14
	v_and_b32_e32 v11, 0x80000000, v11
	v_and_b32_e32 v7, 0x80000000, v7
	v_and_b32_e32 v23, 0x80000000, v23
	v_cndmask_b32_e64 v2, -v2, v35, vcc_lo
	v_and_b32_e32 v17, 0x80000000, v17
	v_xor3_b32 v18, v18, v20, v19
	v_cmp_class_f32_e64 vcc_lo, v10, 0x1f8
	v_xor3_b32 v10, v12, v14, v13
	v_xor_b32_e32 v9, v11, v9
	v_cmp_class_f32_e64 s7, v4, 0x1f8
	v_xor3_b32 v4, v5, v7, v6
	v_cmp_class_f32_e64 s8, v16, 0x1f8
	v_xor_b32_e32 v2, v23, v2
	v_xor_b32_e32 v15, v17, v15
	v_cndmask_b32_e32 v7, 0x7fc00000, v10, vcc_lo
	v_cndmask_b32_e64 v9, 0x7fc00000, v9, s7
	v_cndmask_b32_e64 v5, 0x7fc00000, v18, s8
	;; [unrolled: 1-line block ×3, first 2 shown]
	v_mov_b32_e32 v38, s9
	s_add_i32 s9, s9, 4
	s_add_u32 s40, s40, s10
	s_addc_u32 s41, s41, 0
	v_cndmask_b32_e64 v2, 0x7fc00000, v2, s8
	s_add_u32 s42, s42, s10
	v_cndmask_b32_e32 v6, 0x7fc00000, v15, vcc_lo
	s_addc_u32 s43, s43, 0
	v_mul_f32_e32 v11, v4, v7
	v_mul_f32_e32 v12, v9, v5
	;; [unrolled: 1-line block ×3, first 2 shown]
	s_add_u32 s44, s44, s10
	s_addc_u32 s45, s45, 0
	s_add_u32 s46, s46, s10
	v_mul_f32_e32 v15, v9, v2
	v_mov_b32_e32 v37, s11
	s_addc_u32 s47, s47, 0
	v_mul_f32_e32 v10, v6, v2
	v_mul_f32_e32 v16, v4, v2
	s_add_u32 s48, s48, s10
	v_mul_f32_e32 v14, v6, v5
	v_mul_f32_e32 v17, v4, v6
	;; [unrolled: 1-line block ×3, first 2 shown]
	v_fma_f32 v9, v11, v2, -v12
	v_mul_f32_e32 v2, v13, v2
	s_addc_u32 s49, s49, 0
	v_xor_b32_e32 v7, 0x80000000, v7
	s_add_u32 s50, s50, s10
	s_addc_u32 s51, s51, 0
	s_add_i32 s11, s11, 48
	v_fmac_f32_e32 v15, v11, v5
	s_cmp_lg_u32 s9, 16
	buffer_store_dword v10, v37, s[0:3], 0 offen
	v_fma_f32 v10, v13, v5, -v16
	v_fmac_f32_e32 v2, v4, v5
	buffer_store_dword v14, v37, s[0:3], 0 offen offset:16
	buffer_store_dword v7, v37, s[0:3], 0 offen offset:32
	;; [unrolled: 1-line block ×8, first 2 shown]
	s_waitcnt vmcnt(2)
	buffer_store_dword v21, v37, s[0:3], 0 offen offset:12
	s_waitcnt vmcnt(1)
	buffer_store_dword v22, v37, s[0:3], 0 offen offset:28
	;; [unrolled: 2-line block ×3, first 2 shown]
	buffer_store_dword v3, v38, s[0:3], 0 offen
	s_cbranch_scc0 .LBB2_26
.LBB2_2:                                ; =>This Inner Loop Header: Depth=1
	v_add_co_u32 v4, vcc_lo, s40, v0
	v_add_co_ci_u32_e64 v5, null, s41, v1, vcc_lo
                                        ; implicit-def: $vgpr7
                                        ; implicit-def: $vgpr6
	global_load_dword v4, v[4:5], off
	s_waitcnt vmcnt(0)
	v_and_b32_e32 v5, 0x7fffffff, v4
	v_cmp_ngt_f32_e64 s15, 0x48000000, |v4|
	v_lshrrev_b32_e32 v2, 23, v5
	v_and_or_b32 v10, v5, s12, 0x800000
	v_add_nc_u32_e32 v12, 0xffffff88, v2
	s_and_saveexec_b32 s7, s15
	s_xor_b32 s16, exec_lo, s7
	s_cbranch_execz .LBB2_4
; %bb.3:                                ;   in Loop: Header=BB2_2 Depth=1
	v_mad_u64_u32 v[6:7], null, 0xfe5163ab, v10, 0
	v_cmp_lt_u32_e32 vcc_lo, 63, v12
	v_mov_b32_e32 v2, v7
	v_cndmask_b32_e64 v7, 0, 0xffffffc0, vcc_lo
	v_mad_u64_u32 v[13:14], null, 0x3c439041, v10, v[2:3]
	v_add_nc_u32_e32 v7, v7, v12
	v_cmp_lt_u32_e64 s7, 31, v7
	v_mov_b32_e32 v2, v14
	v_cndmask_b32_e64 v9, 0, 0xffffffe0, s7
	v_mad_u64_u32 v[14:15], null, 0xdb629599, v10, v[2:3]
	v_add_nc_u32_e32 v7, v9, v7
	v_mov_b32_e32 v2, v15
	v_cmp_lt_u32_e64 s8, 31, v7
	v_cndmask_b32_e32 v6, v14, v6, vcc_lo
	v_mad_u64_u32 v[15:16], null, 0xf534ddc0, v10, v[2:3]
	v_mov_b32_e32 v2, v16
	v_mad_u64_u32 v[16:17], null, 0xfc2757d1, v10, v[2:3]
	v_mov_b32_e32 v2, v17
	;; [unrolled: 2-line block ×3, first 2 shown]
	v_cndmask_b32_e32 v9, v17, v15, vcc_lo
	v_mad_u64_u32 v[18:19], null, 0xa2f9836e, v10, v[2:3]
	v_cndmask_b32_e64 v2, 0, 0xffffffe0, s8
	v_add_nc_u32_e32 v2, v2, v7
	v_cndmask_b32_e32 v11, v18, v16, vcc_lo
	v_cndmask_b32_e32 v17, v19, v17, vcc_lo
	;; [unrolled: 1-line block ×4, first 2 shown]
	v_sub_nc_u32_e32 v15, 32, v2
	v_cndmask_b32_e64 v13, v11, v9, s7
	v_cndmask_b32_e64 v11, v17, v11, s7
	;; [unrolled: 1-line block ×4, first 2 shown]
	v_cmp_eq_u32_e32 vcc_lo, 0, v2
	v_cndmask_b32_e64 v6, v7, v6, s7
	v_cndmask_b32_e64 v11, v11, v13, s8
	;; [unrolled: 1-line block ×5, first 2 shown]
	v_alignbit_b32 v17, v11, v13, v15
	v_alignbit_b32 v14, v13, v9, v15
	;; [unrolled: 1-line block ×3, first 2 shown]
	v_cndmask_b32_e32 v2, v17, v11, vcc_lo
	v_cndmask_b32_e32 v7, v14, v13, vcc_lo
	;; [unrolled: 1-line block ×3, first 2 shown]
	v_bfe_u32 v11, v2, 29, 1
	v_alignbit_b32 v13, v2, v7, 30
	v_alignbit_b32 v7, v7, v9, 30
	;; [unrolled: 1-line block ×3, first 2 shown]
	v_sub_nc_u32_e32 v14, 0, v11
	v_xor_b32_e32 v13, v13, v14
	v_xor_b32_e32 v7, v7, v14
	;; [unrolled: 1-line block ×3, first 2 shown]
	v_lshrrev_b32_e32 v14, 29, v2
	v_lshrrev_b32_e32 v2, 30, v2
	v_ffbh_u32_e32 v15, v13
	v_min_u32_e32 v15, 32, v15
	v_sub_nc_u32_e32 v9, 31, v15
	v_lshlrev_b32_e32 v16, 23, v15
	v_alignbit_b32 v13, v13, v7, v9
	v_alignbit_b32 v6, v7, v6, v9
	v_lshlrev_b32_e32 v7, 31, v14
	v_alignbit_b32 v9, v13, v6, 9
	v_or_b32_e32 v14, 0.5, v7
	v_lshrrev_b32_e32 v13, 9, v13
	v_or_b32_e32 v7, 0x33000000, v7
	v_ffbh_u32_e32 v17, v9
	v_sub_nc_u32_e32 v14, v14, v16
	v_min_u32_e32 v16, 32, v17
	v_or_b32_e32 v13, v13, v14
	v_not_b32_e32 v14, v16
	v_mul_f32_e32 v17, 0x3fc90fda, v13
	v_add_lshl_u32 v15, v16, v15, 23
	v_alignbit_b32 v6, v9, v6, v14
	v_fma_f32 v9, 0x3fc90fda, v13, -v17
	v_sub_nc_u32_e32 v7, v7, v15
	v_lshrrev_b32_e32 v6, 9, v6
	v_fmac_f32_e32 v9, 0x33a22168, v13
	v_or_b32_e32 v6, v7, v6
	v_add_nc_u32_e32 v7, v11, v2
	v_fmac_f32_e32 v9, 0x3fc90fda, v6
	v_add_f32_e32 v6, v17, v9
.LBB2_4:                                ;   in Loop: Header=BB2_2 Depth=1
	s_or_saveexec_b32 s7, s16
	v_mul_f32_e64 v2, 0x3f22f983, |v4|
	v_rndne_f32_e32 v2, v2
	s_xor_b32 exec_lo, exec_lo, s7
; %bb.5:                                ;   in Loop: Header=BB2_2 Depth=1
	v_fma_f32 v6, 0xbfc90fda, v2, |v4|
	v_cvt_i32_f32_e32 v7, v2
	v_fmac_f32_e32 v6, 0xb3a22168, v2
	v_fmac_f32_e32 v6, 0xa7c234c4, v2
; %bb.6:                                ;   in Loop: Header=BB2_2 Depth=1
	s_or_b32 exec_lo, exec_lo, s7
                                        ; implicit-def: $vgpr11
                                        ; implicit-def: $vgpr9
	s_and_saveexec_b32 s7, s15
	s_xor_b32 s15, exec_lo, s7
	s_cbranch_execz .LBB2_8
; %bb.7:                                ;   in Loop: Header=BB2_2 Depth=1
	v_mad_u64_u32 v[13:14], null, 0xfe5163ab, v10, 0
	v_cmp_lt_u32_e32 vcc_lo, 63, v12
	v_cndmask_b32_e64 v9, 0, 0xffffffc0, vcc_lo
	v_mov_b32_e32 v2, v14
	v_add_nc_u32_e32 v9, v9, v12
	v_mad_u64_u32 v[14:15], null, 0x3c439041, v10, v[2:3]
	v_cmp_lt_u32_e64 s7, 31, v9
	v_mov_b32_e32 v2, v15
	v_mad_u64_u32 v[15:16], null, 0xdb629599, v10, v[2:3]
	v_mov_b32_e32 v2, v16
	v_cndmask_b32_e32 v13, v15, v13, vcc_lo
	v_mad_u64_u32 v[16:17], null, 0xf534ddc0, v10, v[2:3]
	v_mov_b32_e32 v2, v17
	v_mad_u64_u32 v[17:18], null, 0xfc2757d1, v10, v[2:3]
	v_mov_b32_e32 v2, v18
	v_cndmask_b32_e64 v18, 0, 0xffffffe0, s7
	v_mad_u64_u32 v[11:12], null, 0x4e441529, v10, v[2:3]
	v_mov_b32_e32 v2, v12
	v_add_nc_u32_e32 v12, v18, v9
	v_cndmask_b32_e32 v18, v11, v16, vcc_lo
	v_mad_u64_u32 v[9:10], null, 0xa2f9836e, v10, v[2:3]
	v_cmp_lt_u32_e64 s8, 31, v12
	v_cndmask_b32_e64 v2, 0, 0xffffffe0, s8
	v_cndmask_b32_e32 v9, v9, v17, vcc_lo
	v_cndmask_b32_e32 v10, v10, v11, vcc_lo
	;; [unrolled: 1-line block ×3, first 2 shown]
	v_add_nc_u32_e32 v2, v2, v12
	v_cndmask_b32_e32 v12, v16, v14, vcc_lo
	v_cndmask_b32_e64 v14, v9, v18, s7
	v_cndmask_b32_e64 v9, v10, v9, s7
	;; [unrolled: 1-line block ×3, first 2 shown]
	v_sub_nc_u32_e32 v16, 32, v2
	v_cndmask_b32_e64 v11, v11, v12, s7
	v_cmp_eq_u32_e32 vcc_lo, 0, v2
	v_cndmask_b32_e64 v9, v9, v14, s8
	v_cndmask_b32_e64 v14, v14, v10, s8
	;; [unrolled: 1-line block ×3, first 2 shown]
	v_alignbit_b32 v17, v9, v14, v16
	v_alignbit_b32 v15, v14, v10, v16
	v_cndmask_b32_e32 v2, v17, v9, vcc_lo
	v_cndmask_b32_e64 v9, v12, v13, s7
	v_cndmask_b32_e32 v12, v15, v14, vcc_lo
	v_bfe_u32 v13, v2, 29, 1
	v_cndmask_b32_e64 v9, v11, v9, s8
	v_alignbit_b32 v11, v2, v12, 30
	v_sub_nc_u32_e32 v14, 0, v13
	v_alignbit_b32 v15, v10, v9, v16
	v_xor_b32_e32 v11, v11, v14
	v_cndmask_b32_e32 v10, v15, v10, vcc_lo
	v_ffbh_u32_e32 v15, v11
	v_alignbit_b32 v12, v12, v10, 30
	v_alignbit_b32 v9, v10, v9, 30
	v_min_u32_e32 v15, 32, v15
	v_xor_b32_e32 v10, v12, v14
	v_xor_b32_e32 v9, v9, v14
	v_lshrrev_b32_e32 v14, 29, v2
	v_lshrrev_b32_e32 v2, 30, v2
	v_sub_nc_u32_e32 v12, 31, v15
	v_lshlrev_b32_e32 v16, 23, v15
	v_alignbit_b32 v11, v11, v10, v12
	v_alignbit_b32 v9, v10, v9, v12
	v_lshlrev_b32_e32 v10, 31, v14
	v_alignbit_b32 v12, v11, v9, 9
	v_or_b32_e32 v14, 0.5, v10
	v_lshrrev_b32_e32 v11, 9, v11
	v_or_b32_e32 v10, 0x33000000, v10
	v_ffbh_u32_e32 v17, v12
	v_sub_nc_u32_e32 v14, v14, v16
	v_min_u32_e32 v16, 32, v17
	v_or_b32_e32 v11, v11, v14
	v_not_b32_e32 v14, v16
	v_mul_f32_e32 v17, 0x3fc90fda, v11
	v_add_lshl_u32 v15, v16, v15, 23
	v_alignbit_b32 v9, v12, v9, v14
	v_fma_f32 v12, 0x3fc90fda, v11, -v17
	v_sub_nc_u32_e32 v10, v10, v15
	v_lshrrev_b32_e32 v9, 9, v9
	v_fmac_f32_e32 v12, 0x33a22168, v11
	v_add_nc_u32_e32 v11, v13, v2
                                        ; implicit-def: $vgpr2
	v_or_b32_e32 v9, v10, v9
	v_fmac_f32_e32 v12, 0x3fc90fda, v9
	v_add_f32_e32 v9, v17, v12
	s_andn2_saveexec_b32 s7, s15
	s_cbranch_execnz .LBB2_9
	s_branch .LBB2_10
.LBB2_8:                                ;   in Loop: Header=BB2_2 Depth=1
	s_andn2_saveexec_b32 s7, s15
.LBB2_9:                                ;   in Loop: Header=BB2_2 Depth=1
	v_fma_f32 v9, 0xbfc90fda, v2, |v4|
	v_cvt_i32_f32_e32 v11, v2
	v_fmac_f32_e32 v9, 0xb3a22168, v2
	v_fmac_f32_e32 v9, 0xa7c234c4, v2
.LBB2_10:                               ;   in Loop: Header=BB2_2 Depth=1
	s_or_b32 exec_lo, exec_lo, s7
	v_add_co_u32 v12, vcc_lo, s42, v0
	v_add_co_ci_u32_e64 v13, null, s43, v1, vcc_lo
                                        ; implicit-def: $vgpr14
	global_load_dword v10, v[12:13], off
                                        ; implicit-def: $vgpr13
	s_waitcnt vmcnt(0)
	v_and_b32_e32 v12, 0x7fffffff, v10
	v_cmp_ngt_f32_e64 s15, 0x48000000, |v10|
	v_lshrrev_b32_e32 v2, 23, v12
	v_and_or_b32 v16, v12, s12, 0x800000
	v_add_nc_u32_e32 v18, 0xffffff88, v2
	s_and_saveexec_b32 s7, s15
	s_xor_b32 s16, exec_lo, s7
	s_cbranch_execz .LBB2_12
; %bb.11:                               ;   in Loop: Header=BB2_2 Depth=1
	v_mad_u64_u32 v[13:14], null, 0xfe5163ab, v16, 0
	v_cmp_lt_u32_e32 vcc_lo, 63, v18
	v_mov_b32_e32 v2, v14
	v_mad_u64_u32 v[14:15], null, 0x3c439041, v16, v[2:3]
	v_mov_b32_e32 v2, v15
	v_cndmask_b32_e64 v15, 0, 0xffffffc0, vcc_lo
	v_mad_u64_u32 v[19:20], null, 0xdb629599, v16, v[2:3]
	v_add_nc_u32_e32 v15, v15, v18
	v_cmp_lt_u32_e64 s7, 31, v15
	v_mov_b32_e32 v2, v20
	v_cndmask_b32_e32 v13, v19, v13, vcc_lo
	v_cndmask_b32_e64 v17, 0, 0xffffffe0, s7
	v_mad_u64_u32 v[20:21], null, 0xf534ddc0, v16, v[2:3]
	v_add_nc_u32_e32 v15, v17, v15
	v_mov_b32_e32 v2, v21
	v_cmp_lt_u32_e64 s8, 31, v15
	v_cndmask_b32_e32 v14, v20, v14, vcc_lo
	v_mad_u64_u32 v[21:22], null, 0xfc2757d1, v16, v[2:3]
	v_cndmask_b32_e64 v13, v14, v13, s7
	v_mov_b32_e32 v2, v22
	v_mad_u64_u32 v[22:23], null, 0x4e441529, v16, v[2:3]
	v_mov_b32_e32 v2, v23
	v_cndmask_b32_e32 v17, v22, v20, vcc_lo
	v_mad_u64_u32 v[23:24], null, 0xa2f9836e, v16, v[2:3]
	v_cndmask_b32_e64 v2, 0, 0xffffffe0, s8
	v_add_nc_u32_e32 v2, v2, v15
	v_cndmask_b32_e32 v23, v23, v21, vcc_lo
	v_cndmask_b32_e32 v22, v24, v22, vcc_lo
	;; [unrolled: 1-line block ×3, first 2 shown]
	v_cmp_eq_u32_e32 vcc_lo, 0, v2
	v_cndmask_b32_e64 v15, v23, v17, s7
	v_cndmask_b32_e64 v20, v22, v23, s7
	;; [unrolled: 1-line block ×3, first 2 shown]
	v_sub_nc_u32_e32 v22, 32, v2
	v_cndmask_b32_e64 v21, v21, v14, s7
	v_cndmask_b32_e64 v20, v20, v15, s8
	;; [unrolled: 1-line block ×5, first 2 shown]
	v_alignbit_b32 v23, v20, v15, v22
	v_alignbit_b32 v19, v15, v17, v22
	;; [unrolled: 1-line block ×3, first 2 shown]
	v_cndmask_b32_e32 v2, v23, v20, vcc_lo
	v_cndmask_b32_e32 v14, v19, v15, vcc_lo
	;; [unrolled: 1-line block ×3, first 2 shown]
	v_bfe_u32 v15, v2, 29, 1
	v_alignbit_b32 v19, v2, v14, 30
	v_alignbit_b32 v14, v14, v17, 30
	;; [unrolled: 1-line block ×3, first 2 shown]
	v_sub_nc_u32_e32 v20, 0, v15
	v_xor_b32_e32 v19, v19, v20
	v_xor_b32_e32 v14, v14, v20
	;; [unrolled: 1-line block ×3, first 2 shown]
	v_lshrrev_b32_e32 v20, 29, v2
	v_lshrrev_b32_e32 v2, 30, v2
	v_ffbh_u32_e32 v21, v19
	v_min_u32_e32 v21, 32, v21
	v_sub_nc_u32_e32 v17, 31, v21
	v_lshlrev_b32_e32 v22, 23, v21
	v_alignbit_b32 v19, v19, v14, v17
	v_alignbit_b32 v13, v14, v13, v17
	v_lshlrev_b32_e32 v14, 31, v20
	v_alignbit_b32 v17, v19, v13, 9
	v_or_b32_e32 v20, 0.5, v14
	v_lshrrev_b32_e32 v19, 9, v19
	v_or_b32_e32 v14, 0x33000000, v14
	v_ffbh_u32_e32 v23, v17
	v_sub_nc_u32_e32 v20, v20, v22
	v_min_u32_e32 v22, 32, v23
	v_or_b32_e32 v19, v19, v20
	v_not_b32_e32 v20, v22
	v_mul_f32_e32 v23, 0x3fc90fda, v19
	v_add_lshl_u32 v21, v22, v21, 23
	v_alignbit_b32 v13, v17, v13, v20
	v_fma_f32 v17, 0x3fc90fda, v19, -v23
	v_sub_nc_u32_e32 v14, v14, v21
	v_lshrrev_b32_e32 v13, 9, v13
	v_fmac_f32_e32 v17, 0x33a22168, v19
	v_or_b32_e32 v13, v14, v13
	v_add_nc_u32_e32 v14, v15, v2
	v_fmac_f32_e32 v17, 0x3fc90fda, v13
	v_add_f32_e32 v13, v23, v17
.LBB2_12:                               ;   in Loop: Header=BB2_2 Depth=1
	s_or_saveexec_b32 s7, s16
	v_mul_f32_e64 v2, 0x3f22f983, |v10|
	v_rndne_f32_e32 v2, v2
	s_xor_b32 exec_lo, exec_lo, s7
; %bb.13:                               ;   in Loop: Header=BB2_2 Depth=1
	v_fma_f32 v13, 0xbfc90fda, v2, |v10|
	v_cvt_i32_f32_e32 v14, v2
	v_fmac_f32_e32 v13, 0xb3a22168, v2
	v_fmac_f32_e32 v13, 0xa7c234c4, v2
; %bb.14:                               ;   in Loop: Header=BB2_2 Depth=1
	s_or_b32 exec_lo, exec_lo, s7
                                        ; implicit-def: $vgpr17
                                        ; implicit-def: $vgpr15
	s_and_saveexec_b32 s7, s15
	s_xor_b32 s15, exec_lo, s7
	s_cbranch_execz .LBB2_16
; %bb.15:                               ;   in Loop: Header=BB2_2 Depth=1
	v_mad_u64_u32 v[19:20], null, 0xfe5163ab, v16, 0
	v_cmp_lt_u32_e32 vcc_lo, 63, v18
	v_cndmask_b32_e64 v15, 0, 0xffffffc0, vcc_lo
	v_mov_b32_e32 v2, v20
	v_add_nc_u32_e32 v15, v15, v18
	v_mad_u64_u32 v[20:21], null, 0x3c439041, v16, v[2:3]
	v_cmp_lt_u32_e64 s7, 31, v15
	v_mov_b32_e32 v2, v21
	v_mad_u64_u32 v[21:22], null, 0xdb629599, v16, v[2:3]
	v_mov_b32_e32 v2, v22
	v_cndmask_b32_e32 v19, v21, v19, vcc_lo
	v_mad_u64_u32 v[22:23], null, 0xf534ddc0, v16, v[2:3]
	v_mov_b32_e32 v2, v23
	v_mad_u64_u32 v[23:24], null, 0xfc2757d1, v16, v[2:3]
	v_mov_b32_e32 v2, v24
	v_cndmask_b32_e64 v24, 0, 0xffffffe0, s7
	v_mad_u64_u32 v[17:18], null, 0x4e441529, v16, v[2:3]
	v_mov_b32_e32 v2, v18
	v_add_nc_u32_e32 v18, v24, v15
	v_cndmask_b32_e32 v24, v17, v22, vcc_lo
	v_mad_u64_u32 v[15:16], null, 0xa2f9836e, v16, v[2:3]
	v_cmp_lt_u32_e64 s8, 31, v18
	v_cndmask_b32_e64 v2, 0, 0xffffffe0, s8
	v_cndmask_b32_e32 v15, v15, v23, vcc_lo
	v_cndmask_b32_e32 v16, v16, v17, vcc_lo
	;; [unrolled: 1-line block ×3, first 2 shown]
	v_add_nc_u32_e32 v2, v2, v18
	v_cndmask_b32_e32 v18, v22, v20, vcc_lo
	v_cndmask_b32_e64 v20, v15, v24, s7
	v_cndmask_b32_e64 v15, v16, v15, s7
	;; [unrolled: 1-line block ×3, first 2 shown]
	v_sub_nc_u32_e32 v22, 32, v2
	v_cndmask_b32_e64 v17, v17, v18, s7
	v_cmp_eq_u32_e32 vcc_lo, 0, v2
	v_cndmask_b32_e64 v15, v15, v20, s8
	v_cndmask_b32_e64 v20, v20, v16, s8
	;; [unrolled: 1-line block ×3, first 2 shown]
	v_alignbit_b32 v23, v15, v20, v22
	v_alignbit_b32 v21, v20, v16, v22
	v_cndmask_b32_e32 v2, v23, v15, vcc_lo
	v_cndmask_b32_e64 v15, v18, v19, s7
	v_cndmask_b32_e32 v18, v21, v20, vcc_lo
	v_bfe_u32 v19, v2, 29, 1
	v_cndmask_b32_e64 v15, v17, v15, s8
	v_alignbit_b32 v17, v2, v18, 30
	v_sub_nc_u32_e32 v20, 0, v19
	v_alignbit_b32 v21, v16, v15, v22
	v_xor_b32_e32 v17, v17, v20
	v_cndmask_b32_e32 v16, v21, v16, vcc_lo
	v_ffbh_u32_e32 v21, v17
	v_alignbit_b32 v18, v18, v16, 30
	v_alignbit_b32 v15, v16, v15, 30
	v_min_u32_e32 v21, 32, v21
	v_xor_b32_e32 v16, v18, v20
	v_xor_b32_e32 v15, v15, v20
	v_lshrrev_b32_e32 v20, 29, v2
	v_lshrrev_b32_e32 v2, 30, v2
	v_sub_nc_u32_e32 v18, 31, v21
	v_lshlrev_b32_e32 v22, 23, v21
	v_alignbit_b32 v17, v17, v16, v18
	v_alignbit_b32 v15, v16, v15, v18
	v_lshlrev_b32_e32 v16, 31, v20
	v_alignbit_b32 v18, v17, v15, 9
	v_or_b32_e32 v20, 0.5, v16
	v_lshrrev_b32_e32 v17, 9, v17
	v_or_b32_e32 v16, 0x33000000, v16
	v_ffbh_u32_e32 v23, v18
	v_sub_nc_u32_e32 v20, v20, v22
	v_min_u32_e32 v22, 32, v23
	v_or_b32_e32 v17, v17, v20
	v_not_b32_e32 v20, v22
	v_mul_f32_e32 v23, 0x3fc90fda, v17
	v_add_lshl_u32 v21, v22, v21, 23
	v_alignbit_b32 v15, v18, v15, v20
	v_fma_f32 v18, 0x3fc90fda, v17, -v23
	v_sub_nc_u32_e32 v16, v16, v21
	v_lshrrev_b32_e32 v15, 9, v15
	v_fmac_f32_e32 v18, 0x33a22168, v17
	v_add_nc_u32_e32 v17, v19, v2
                                        ; implicit-def: $vgpr2
	v_or_b32_e32 v15, v16, v15
	v_fmac_f32_e32 v18, 0x3fc90fda, v15
	v_add_f32_e32 v15, v23, v18
	s_andn2_saveexec_b32 s7, s15
	s_cbranch_execnz .LBB2_17
	s_branch .LBB2_18
.LBB2_16:                               ;   in Loop: Header=BB2_2 Depth=1
	s_andn2_saveexec_b32 s7, s15
.LBB2_17:                               ;   in Loop: Header=BB2_2 Depth=1
	v_fma_f32 v15, 0xbfc90fda, v2, |v10|
	v_cvt_i32_f32_e32 v17, v2
	v_fmac_f32_e32 v15, 0xb3a22168, v2
	v_fmac_f32_e32 v15, 0xa7c234c4, v2
.LBB2_18:                               ;   in Loop: Header=BB2_2 Depth=1
	s_or_b32 exec_lo, exec_lo, s7
	v_add_co_u32 v18, vcc_lo, s44, v0
	v_add_co_ci_u32_e64 v19, null, s45, v1, vcc_lo
                                        ; implicit-def: $vgpr20
	global_load_dword v16, v[18:19], off
                                        ; implicit-def: $vgpr19
	s_waitcnt vmcnt(0)
	v_and_b32_e32 v18, 0x7fffffff, v16
	v_cmp_ngt_f32_e64 s15, 0x48000000, |v16|
	v_lshrrev_b32_e32 v2, 23, v18
	v_and_or_b32 v21, v18, s12, 0x800000
	v_add_nc_u32_e32 v22, 0xffffff88, v2
	s_and_saveexec_b32 s7, s15
	s_xor_b32 s16, exec_lo, s7
	s_cbranch_execz .LBB2_20
; %bb.19:                               ;   in Loop: Header=BB2_2 Depth=1
	v_mad_u64_u32 v[19:20], null, 0xfe5163ab, v21, 0
	v_cmp_lt_u32_e32 vcc_lo, 63, v22
	v_mov_b32_e32 v2, v20
	v_cndmask_b32_e64 v20, 0, 0xffffffc0, vcc_lo
	v_mad_u64_u32 v[23:24], null, 0x3c439041, v21, v[2:3]
	v_add_nc_u32_e32 v20, v20, v22
	v_cmp_lt_u32_e64 s7, 31, v20
	v_mov_b32_e32 v2, v24
	v_cndmask_b32_e64 v29, 0, 0xffffffe0, s7
	v_mad_u64_u32 v[24:25], null, 0xdb629599, v21, v[2:3]
	v_add_nc_u32_e32 v20, v29, v20
	v_mov_b32_e32 v2, v25
	v_cmp_lt_u32_e64 s8, 31, v20
	v_cndmask_b32_e32 v19, v24, v19, vcc_lo
	v_mad_u64_u32 v[25:26], null, 0xf534ddc0, v21, v[2:3]
	v_mov_b32_e32 v2, v26
	v_mad_u64_u32 v[26:27], null, 0xfc2757d1, v21, v[2:3]
	v_mov_b32_e32 v2, v27
	;; [unrolled: 2-line block ×3, first 2 shown]
	v_cndmask_b32_e32 v30, v27, v25, vcc_lo
	v_mad_u64_u32 v[28:29], null, 0xa2f9836e, v21, v[2:3]
	v_cndmask_b32_e64 v2, 0, 0xffffffe0, s8
	v_add_nc_u32_e32 v2, v2, v20
	v_cndmask_b32_e32 v28, v28, v26, vcc_lo
	v_cndmask_b32_e32 v27, v29, v27, vcc_lo
	;; [unrolled: 1-line block ×4, first 2 shown]
	v_cmp_eq_u32_e32 vcc_lo, 0, v2
	v_cndmask_b32_e64 v23, v28, v30, s7
	v_cndmask_b32_e64 v25, v27, v28, s7
	;; [unrolled: 1-line block ×3, first 2 shown]
	v_sub_nc_u32_e32 v28, 32, v2
	v_cndmask_b32_e64 v26, v26, v20, s7
	v_cndmask_b32_e64 v19, v20, v19, s7
	;; [unrolled: 1-line block ×6, first 2 shown]
	v_alignbit_b32 v29, v25, v23, v28
	v_alignbit_b32 v24, v23, v27, v28
	;; [unrolled: 1-line block ×3, first 2 shown]
	v_cndmask_b32_e32 v2, v29, v25, vcc_lo
	v_cndmask_b32_e32 v20, v24, v23, vcc_lo
	;; [unrolled: 1-line block ×3, first 2 shown]
	v_bfe_u32 v23, v2, 29, 1
	v_alignbit_b32 v24, v2, v20, 30
	v_alignbit_b32 v20, v20, v26, 30
	;; [unrolled: 1-line block ×3, first 2 shown]
	v_sub_nc_u32_e32 v25, 0, v23
	v_xor_b32_e32 v24, v24, v25
	v_xor_b32_e32 v20, v20, v25
	;; [unrolled: 1-line block ×3, first 2 shown]
	v_lshrrev_b32_e32 v25, 29, v2
	v_lshrrev_b32_e32 v2, 30, v2
	v_ffbh_u32_e32 v27, v24
	v_min_u32_e32 v27, 32, v27
	v_sub_nc_u32_e32 v26, 31, v27
	v_lshlrev_b32_e32 v28, 23, v27
	v_alignbit_b32 v24, v24, v20, v26
	v_alignbit_b32 v19, v20, v19, v26
	v_lshlrev_b32_e32 v20, 31, v25
	v_alignbit_b32 v25, v24, v19, 9
	v_or_b32_e32 v26, 0.5, v20
	v_lshrrev_b32_e32 v24, 9, v24
	v_or_b32_e32 v20, 0x33000000, v20
	v_ffbh_u32_e32 v29, v25
	v_sub_nc_u32_e32 v26, v26, v28
	v_min_u32_e32 v28, 32, v29
	v_or_b32_e32 v24, v24, v26
	v_not_b32_e32 v26, v28
	v_mul_f32_e32 v29, 0x3fc90fda, v24
	v_add_lshl_u32 v27, v28, v27, 23
	v_alignbit_b32 v19, v25, v19, v26
	v_fma_f32 v25, 0x3fc90fda, v24, -v29
	v_sub_nc_u32_e32 v20, v20, v27
	v_lshrrev_b32_e32 v19, 9, v19
	v_fmac_f32_e32 v25, 0x33a22168, v24
	v_or_b32_e32 v19, v20, v19
	v_add_nc_u32_e32 v20, v23, v2
	v_fmac_f32_e32 v25, 0x3fc90fda, v19
	v_add_f32_e32 v19, v29, v25
.LBB2_20:                               ;   in Loop: Header=BB2_2 Depth=1
	s_or_saveexec_b32 s7, s16
	v_mul_f32_e64 v2, 0x3f22f983, |v16|
	v_rndne_f32_e32 v24, v2
	s_xor_b32 exec_lo, exec_lo, s7
; %bb.21:                               ;   in Loop: Header=BB2_2 Depth=1
	v_fma_f32 v19, 0xbfc90fda, v24, |v16|
	v_cvt_i32_f32_e32 v20, v24
	v_fmac_f32_e32 v19, 0xb3a22168, v24
	v_fmac_f32_e32 v19, 0xa7c234c4, v24
; %bb.22:                               ;   in Loop: Header=BB2_2 Depth=1
	s_or_b32 exec_lo, exec_lo, s7
                                        ; implicit-def: $vgpr23
                                        ; implicit-def: $vgpr2
	s_and_saveexec_b32 s7, s15
	s_xor_b32 s15, exec_lo, s7
	s_cbranch_execz .LBB2_24
; %bb.23:                               ;   in Loop: Header=BB2_2 Depth=1
	v_mad_u64_u32 v[23:24], null, 0xfe5163ab, v21, 0
	v_cmp_lt_u32_e32 vcc_lo, 63, v22
	v_cndmask_b32_e64 v29, 0, 0xffffffc0, vcc_lo
	v_mov_b32_e32 v2, v24
	v_add_nc_u32_e32 v22, v29, v22
	v_mad_u64_u32 v[24:25], null, 0x3c439041, v21, v[2:3]
	v_cmp_lt_u32_e64 s7, 31, v22
	v_mov_b32_e32 v2, v25
	v_cndmask_b32_e64 v30, 0, 0xffffffe0, s7
	v_mad_u64_u32 v[25:26], null, 0xdb629599, v21, v[2:3]
	v_mov_b32_e32 v2, v26
	v_cndmask_b32_e32 v23, v25, v23, vcc_lo
	v_mad_u64_u32 v[26:27], null, 0xf534ddc0, v21, v[2:3]
	v_mov_b32_e32 v2, v27
	v_cndmask_b32_e32 v24, v26, v24, vcc_lo
	v_mad_u64_u32 v[27:28], null, 0xfc2757d1, v21, v[2:3]
	v_mov_b32_e32 v2, v28
	v_mad_u64_u32 v[28:29], null, 0x4e441529, v21, v[2:3]
	v_mov_b32_e32 v2, v29
	v_add_nc_u32_e32 v29, v30, v22
	v_cndmask_b32_e32 v30, v28, v26, vcc_lo
	v_mad_u64_u32 v[21:22], null, 0xa2f9836e, v21, v[2:3]
	v_cmp_lt_u32_e64 s8, 31, v29
	v_cndmask_b32_e64 v2, 0, 0xffffffe0, s8
	v_cndmask_b32_e32 v21, v21, v27, vcc_lo
	v_cndmask_b32_e32 v22, v22, v28, vcc_lo
	;; [unrolled: 1-line block ×3, first 2 shown]
	v_add_nc_u32_e32 v2, v2, v29
	v_cndmask_b32_e64 v26, v21, v30, s7
	v_cndmask_b32_e64 v21, v22, v21, s7
	v_cndmask_b32_e64 v22, v30, v27, s7
	v_cndmask_b32_e64 v27, v27, v24, s7
	v_sub_nc_u32_e32 v28, 32, v2
	v_cmp_eq_u32_e32 vcc_lo, 0, v2
	v_cndmask_b32_e64 v21, v21, v26, s8
	v_cndmask_b32_e64 v26, v26, v22, s8
	;; [unrolled: 1-line block ×3, first 2 shown]
	v_alignbit_b32 v29, v21, v26, v28
	v_alignbit_b32 v25, v26, v22, v28
	v_cndmask_b32_e32 v2, v29, v21, vcc_lo
	v_cndmask_b32_e64 v21, v24, v23, s7
	v_cndmask_b32_e32 v23, v25, v26, vcc_lo
	v_bfe_u32 v24, v2, 29, 1
	v_cndmask_b32_e64 v21, v27, v21, s8
	v_alignbit_b32 v25, v2, v23, 30
	v_sub_nc_u32_e32 v26, 0, v24
	v_alignbit_b32 v27, v22, v21, v28
	v_xor_b32_e32 v25, v25, v26
	v_cndmask_b32_e32 v22, v27, v22, vcc_lo
	v_ffbh_u32_e32 v27, v25
	v_alignbit_b32 v23, v23, v22, 30
	v_alignbit_b32 v21, v22, v21, 30
	v_min_u32_e32 v27, 32, v27
	v_xor_b32_e32 v22, v23, v26
	v_xor_b32_e32 v21, v21, v26
	v_lshrrev_b32_e32 v26, 29, v2
	v_sub_nc_u32_e32 v23, 31, v27
	v_lshlrev_b32_e32 v28, 23, v27
	v_alignbit_b32 v25, v25, v22, v23
	v_alignbit_b32 v21, v22, v21, v23
	v_lshlrev_b32_e32 v22, 31, v26
	v_alignbit_b32 v23, v25, v21, 9
	v_or_b32_e32 v26, 0.5, v22
	v_lshrrev_b32_e32 v25, 9, v25
	v_or_b32_e32 v22, 0x33000000, v22
	v_ffbh_u32_e32 v29, v23
	v_sub_nc_u32_e32 v26, v26, v28
	v_min_u32_e32 v28, 32, v29
	v_or_b32_e32 v25, v25, v26
	v_not_b32_e32 v26, v28
	v_mul_f32_e32 v29, 0x3fc90fda, v25
	v_add_lshl_u32 v27, v28, v27, 23
	v_alignbit_b32 v21, v23, v21, v26
	v_fma_f32 v23, 0x3fc90fda, v25, -v29
	v_sub_nc_u32_e32 v22, v22, v27
	v_lshrrev_b32_e32 v21, 9, v21
	v_fmac_f32_e32 v23, 0x33a22168, v25
	v_or_b32_e32 v21, v22, v21
	v_fmac_f32_e32 v23, 0x3fc90fda, v21
	v_lshrrev_b32_e32 v21, 30, v2
	v_add_f32_e32 v2, v29, v23
	v_add_nc_u32_e32 v23, v24, v21
                                        ; implicit-def: $vgpr24
	s_andn2_saveexec_b32 s7, s15
	s_cbranch_execz .LBB2_1
	s_branch .LBB2_25
.LBB2_24:                               ;   in Loop: Header=BB2_2 Depth=1
	s_andn2_saveexec_b32 s7, s15
	s_cbranch_execz .LBB2_1
.LBB2_25:                               ;   in Loop: Header=BB2_2 Depth=1
	v_fma_f32 v2, 0xbfc90fda, v24, |v16|
	v_cvt_i32_f32_e32 v23, v24
	v_fmac_f32_e32 v2, 0xb3a22168, v24
	v_fmac_f32_e32 v2, 0xa7c234c4, v24
	s_branch .LBB2_1
.LBB2_26:
	s_clause 0x33
	buffer_load_dword v9, off, s[0:3], 0 offset:32
	buffer_load_dword v10, off, s[0:3], 0 offset:36
	;; [unrolled: 1-line block ×51, first 2 shown]
	buffer_load_dword v44, off, s[0:3], 0
	s_clause 0x1
	s_load_dwordx2 s[8:9], s[4:5], 0x0
	s_load_dwordx4 s[24:27], s[4:5], 0x48
	v_mov_b32_e32 v61, 0
	s_mov_b32 s31, 0
	s_mov_b32 s30, s31
	s_waitcnt lgkmcnt(0)
	s_max_i32 s40, s9, 1
	s_max_i32 s41, s8, 1
	s_add_u32 s28, s36, 8
	s_addc_u32 s29, s37, 0
.LBB2_27:                               ; =>This Loop Header: Depth=1
                                        ;     Child Loop BB2_28 Depth 2
	s_lshl_b64 s[4:5], s[30:31], 4
	s_mov_b32 s36, s40
	s_add_u32 s4, s38, s4
	s_addc_u32 s5, s39, s5
	s_mov_b64 s[34:35], s[28:29]
	global_load_dwordx4 v[4:7], v61, s[4:5]
	s_waitcnt vmcnt(0)
	v_ashrrev_i32_e32 v1, 31, v7
	v_mov_b32_e32 v0, v7
	v_fma_f32 v62, v4, v57, v60
	v_fma_f32 v63, v4, v9, v12
	;; [unrolled: 1-line block ×4, first 2 shown]
	v_lshlrev_b64 v[0:1], 4, v[0:1]
	v_fma_f32 v66, v4, v23, v22
	v_fma_f32 v67, v4, v27, v26
	;; [unrolled: 1-line block ×5, first 2 shown]
	v_add_co_u32 v0, vcc_lo, s26, v0
	v_add_co_ci_u32_e64 v1, null, s27, v1, vcc_lo
	v_fma_f32 v71, v4, v46, v45
	v_fma_f32 v72, v4, v49, v48
	;; [unrolled: 1-line block ×3, first 2 shown]
	global_load_dwordx4 v[0:3], v[0:1], off
	v_fmac_f32_e32 v62, v5, v58
	v_fmac_f32_e32 v63, v5, v10
	;; [unrolled: 1-line block ×24, first 2 shown]
	s_waitcnt vmcnt(0)
	v_cmp_gt_f32_e64 s4, 0, v2
	v_cmp_lt_f32_e64 s5, 0, v2
	v_cmp_eq_u32_e64 s7, 0x46, v0
	v_cmp_eq_u32_e64 s8, 0x45, v0
	v_cndmask_b32_e64 v0, 1.0, 0x40b00000, s4
	v_cndmask_b32_e64 v74, 0xff7fffff, 1.0, s4
.LBB2_28:                               ;   Parent Loop BB2_27 Depth=1
                                        ; =>  This Inner Loop Header: Depth=2
	global_load_dwordx4 v[75:78], v61, s[34:35] offset:-8
	s_waitcnt vmcnt(0)
	v_ashrrev_i32_e32 v5, 31, v78
	v_mov_b32_e32 v4, v78
	v_sub_f32_e32 v79, v63, v76
	v_sub_f32_e32 v82, v66, v76
	;; [unrolled: 1-line block ×4, first 2 shown]
	v_lshlrev_b64 v[4:5], 4, v[4:5]
	v_sub_f32_e32 v78, v62, v75
	v_sub_f32_e32 v81, v65, v75
	;; [unrolled: 1-line block ×4, first 2 shown]
	v_mul_f32_e32 v79, v79, v79
	v_add_co_u32 v4, vcc_lo, s26, v4
	v_add_co_ci_u32_e64 v5, null, s27, v5, vcc_lo
	v_mul_f32_e32 v82, v82, v82
	v_mul_f32_e32 v85, v85, v85
	;; [unrolled: 1-line block ×3, first 2 shown]
	global_load_dwordx4 v[4:7], v[4:5], off
	v_sub_f32_e32 v80, v64, v77
	v_sub_f32_e32 v83, v67, v77
	;; [unrolled: 1-line block ×4, first 2 shown]
	v_fmac_f32_e32 v79, v78, v78
	v_fmac_f32_e32 v82, v81, v81
	v_fmac_f32_e32 v85, v84, v84
	v_fmac_f32_e32 v76, v75, v75
	v_fmac_f32_e32 v79, v80, v80
	v_fmac_f32_e32 v82, v83, v83
	v_fmac_f32_e32 v85, v86, v86
	v_fmac_f32_e32 v76, v77, v77
	v_mul_f32_e32 v75, 0x4f800000, v79
	v_mul_f32_e32 v77, 0x4f800000, v82
	v_cmp_gt_f32_e32 vcc_lo, 0xf800000, v82
	v_cmp_gt_f32_e64 s9, 0xf800000, v79
	v_mul_f32_e32 v78, 0x4f800000, v85
	v_cmp_gt_f32_e64 s10, 0xf800000, v85
	v_mul_f32_e32 v80, 0x4f800000, v76
	v_cmp_gt_f32_e64 s11, 0xf800000, v76
	v_cndmask_b32_e64 v75, v79, v75, s9
	v_cndmask_b32_e32 v77, v82, v77, vcc_lo
	v_cndmask_b32_e64 v78, v85, v78, s10
	v_cndmask_b32_e64 v76, v76, v80, s11
	v_sqrt_f32_e32 v79, v75
	v_sqrt_f32_e32 v80, v77
	v_sqrt_f32_e32 v81, v78
	v_cmp_class_f32_e64 s12, v77, 0x260
	v_sqrt_f32_e32 v82, v76
	v_cmp_class_f32_e64 s13, v78, 0x260
	v_cmp_class_f32_e64 s14, v76, 0x260
	;; [unrolled: 1-line block ×3, first 2 shown]
	v_add_nc_u32_e32 v83, -1, v79
	v_add_nc_u32_e32 v85, -1, v80
	;; [unrolled: 1-line block ×3, first 2 shown]
	v_add_nc_u32_e32 v84, 1, v79
	v_add_nc_u32_e32 v89, -1, v82
	v_add_nc_u32_e32 v86, 1, v80
	v_add_nc_u32_e32 v88, 1, v81
	;; [unrolled: 1-line block ×3, first 2 shown]
	v_fma_f32 v91, -v83, v79, v75
	v_fma_f32 v93, -v85, v80, v77
	v_fma_f32 v95, -v87, v81, v78
	v_fma_f32 v97, -v89, v82, v76
	v_fma_f32 v92, -v84, v79, v75
	v_fma_f32 v94, -v86, v80, v77
	v_fma_f32 v96, -v88, v81, v78
	v_fma_f32 v98, -v90, v82, v76
	v_cmp_ge_f32_e64 s16, 0, v91
	v_cmp_ge_f32_e64 s17, 0, v93
	v_cmp_ge_f32_e64 s19, 0, v95
	v_cmp_ge_f32_e64 s21, 0, v97
	v_cmp_lt_f32_e64 s18, 0, v94
	v_cmp_lt_f32_e64 s20, 0, v96
	;; [unrolled: 1-line block ×4, first 2 shown]
	v_cndmask_b32_e64 v79, v79, v83, s16
	v_cndmask_b32_e64 v80, v80, v85, s17
	;; [unrolled: 1-line block ×8, first 2 shown]
	v_mul_f32_e32 v83, 0x37800000, v79
	v_mul_f32_e32 v84, 0x37800000, v80
	;; [unrolled: 1-line block ×4, first 2 shown]
	v_cndmask_b32_e64 v79, v79, v83, s9
	v_cndmask_b32_e32 v80, v80, v84, vcc_lo
	v_cndmask_b32_e64 v81, v81, v85, s10
	v_cndmask_b32_e64 v82, v82, v86, s11
	;; [unrolled: 1-line block ×6, first 2 shown]
	s_waitcnt vmcnt(0)
	v_add_f32_e32 v5, v1, v5
	v_cmp_gt_f32_e64 s9, 0, v6
	v_cmp_eq_u32_e32 vcc_lo, 0x46, v4
	v_cmp_lt_f32_e64 s11, 0, v6
	v_cmp_eq_u32_e64 s10, 0x45, v4
	v_mul_f32_e32 v4, v3, v7
	v_cndmask_b32_e64 v7, v74, v0, s9
	v_div_scale_f32 v79, null, v5, v5, 1.0
	s_and_b32 s14, vcc_lo, s7
	s_and_b32 s9, s9, s5
	s_and_b32 s11, s11, s4
	v_cmp_neq_f32_e64 s12, 0, v6
	v_sub_f32_e32 v81, v75, v5
	v_sub_f32_e32 v82, v77, v5
	;; [unrolled: 1-line block ×4, first 2 shown]
	v_cndmask_b32_e64 v85, 2.0, 4.0, s14
	v_cndmask_b32_e64 v6, v6, -v6, s9
	v_cndmask_b32_e64 v86, v2, -v2, s11
	v_cndmask_b32_e64 v87, 0.5, 0x3e800000, s14
	v_div_scale_f32 v88, null, v7, v7, 1.0
	v_rcp_f32_e32 v90, v79
	s_or_b32 s23, s10, s8
	v_cmp_gt_f32_e64 s10, 0, v81
	v_cmp_gt_f32_e64 s11, 0, v82
	v_cmp_gt_f32_e64 s15, 0, v83
	v_cmp_gt_f32_e64 s17, 0, v84
	v_add_f32_e32 v6, v6, v86
	v_cmp_lt_f32_e64 s19, v81, v85
	v_cmp_lt_f32_e64 s20, v82, v85
	v_cmp_lt_f32_e64 s21, v83, v85
	v_cmp_lt_f32_e64 s22, v84, v85
	v_fma_f32 v85, -v87, v81, 1.0
	v_fma_f32 v86, -v87, v82, 1.0
	;; [unrolled: 1-line block ×4, first 2 shown]
	v_rcp_f32_e32 v92, v88
	v_cndmask_b32_e64 v97, 0, 1.0, s19
	v_cndmask_b32_e64 v98, 0, 1.0, s20
	;; [unrolled: 1-line block ×8, first 2 shown]
	v_fma_f32 v105, -v79, v90, 1.0
	v_div_scale_f32 v80, s13, 1.0, v5, 1.0
	v_mul_f32_e32 v85, v97, v85
	v_mul_f32_e32 v86, v98, v86
	;; [unrolled: 1-line block ×4, first 2 shown]
	v_fma_f32 v97, -v88, v92, 1.0
	v_fmac_f32_e32 v90, v105, v90
	v_div_scale_f32 v89, s9, 1.0, v7, 1.0
	v_mul_f32_e32 v85, v4, v85
	v_mul_f32_e32 v86, v4, v86
	;; [unrolled: 1-line block ×4, first 2 shown]
	v_fmac_f32_e32 v92, v97, v92
	v_mul_f32_e32 v87, v80, v90
	v_cmp_lt_f32_e32 vcc_lo, v81, v7
	v_cmp_lt_f32_e64 s14, v82, v7
	v_cmp_lt_f32_e64 s16, v83, v7
	v_mul_f32_e32 v97, v89, v92
	v_fma_f32 v98, -v79, v87, v80
	s_and_b32 s37, s12, vcc_lo
	s_mov_b32 vcc_lo, s13
	v_cmp_lt_f32_e64 s18, v84, v7
	v_fma_f32 v99, -v88, v97, v89
	v_fmac_f32_e32 v87, v98, v90
	v_cndmask_b32_e64 v93, 0, 0x42980000, s10
	v_cndmask_b32_e64 v94, 0, 0x42980000, s11
	;; [unrolled: 1-line block ×3, first 2 shown]
	v_fmac_f32_e32 v97, v99, v92
	v_fma_f32 v79, -v79, v87, v80
	v_cndmask_b32_e64 v96, 0, 0x42980000, s17
	s_and_b32 s14, s12, s14
	s_and_b32 s16, s12, s16
	v_fma_f32 v80, -v88, v97, v89
	v_div_fmas_f32 v79, v79, v90, v87
	s_mov_b32 vcc_lo, s9
	s_and_b32 s12, s12, s18
	v_cndmask_b32_e64 v101, 0, 1.0, s37
	v_div_fmas_f32 v80, v80, v92, v97
	v_div_fixup_f32 v5, v79, v5, 1.0
	v_cndmask_b32_e64 v102, 0, 1.0, s14
	v_cndmask_b32_e64 v103, 0, 1.0, s16
	;; [unrolled: 1-line block ×3, first 2 shown]
	v_div_fixup_f32 v7, v80, v7, 1.0
	v_fma_f32 v75, -v5, v75, 1.0
	v_fma_f32 v77, -v5, v77, 1.0
	;; [unrolled: 1-line block ×4, first 2 shown]
	v_cndmask_b32_e64 v85, v85, -|v85|, s23
	v_cndmask_b32_e64 v86, v86, -|v86|, s23
	v_cndmask_b32_e64 v91, v91, -|v91|, s23
	v_cndmask_b32_e64 v4, v4, -|v4|, s23
	v_fma_f32 v76, -v7, v81, 1.0
	v_fma_f32 v79, -v7, v82, 1.0
	;; [unrolled: 1-line block ×4, first 2 shown]
	v_fmac_f32_e32 v44, v75, v93
	v_fmac_f32_e32 v41, v77, v94
	;; [unrolled: 1-line block ×4, first 2 shown]
	v_mul_f32_e32 v101, v6, v101
	v_mul_f32_e32 v102, v6, v102
	;; [unrolled: 1-line block ×4, first 2 shown]
	v_cndmask_b32_e64 v5, v76, 1.0, s10
	v_cndmask_b32_e64 v75, v79, 1.0, s11
	;; [unrolled: 1-line block ×4, first 2 shown]
	v_fmac_f32_e32 v44, 0x42340000, v85
	v_fmac_f32_e32 v41, 0x42340000, v86
	;; [unrolled: 1-line block ×4, first 2 shown]
	s_add_u32 s34, s34, 16
	v_fmac_f32_e32 v44, v5, v101
	v_fmac_f32_e32 v41, v75, v102
	;; [unrolled: 1-line block ×4, first 2 shown]
	s_addc_u32 s35, s35, 0
	s_add_i32 s36, s36, -1
	s_cmp_lg_u32 s36, 0
	s_cbranch_scc1 .LBB2_28
; %bb.29:                               ;   in Loop: Header=BB2_27 Depth=1
	s_add_i32 s30, s30, 1
	s_cmp_lg_u32 s30, s41
	s_cbranch_scc1 .LBB2_27
; %bb.30:
	buffer_store_dword v41, off, s[0:3], 0 offset:4
	buffer_store_dword v44, off, s[0:3], 0
	buffer_store_dword v31, off, s[0:3], 0 offset:8
	buffer_store_dword v20, off, s[0:3], 0 offset:12
	s_and_saveexec_b32 s4, s6
	s_cbranch_execz .LBB2_32
; %bb.31:
	v_mov_b32_e32 v9, 0
	v_mul_f32_e32 v10, 0.5, v44
	v_mul_f32_e32 v11, 0.5, v41
	;; [unrolled: 1-line block ×4, first 2 shown]
	v_lshlrev_b64 v[0:1], 2, v[8:9]
	v_add_nc_u32_e32 v8, s33, v8
	v_lshlrev_b64 v[2:3], 2, v[8:9]
	v_add_nc_u32_e32 v8, s33, v8
	v_add_co_u32 v0, vcc_lo, s24, v0
	v_add_co_ci_u32_e64 v1, null, s25, v1, vcc_lo
	v_lshlrev_b64 v[4:5], 2, v[8:9]
	v_add_nc_u32_e32 v8, s33, v8
	v_add_co_u32 v2, vcc_lo, s24, v2
	v_add_co_ci_u32_e64 v3, null, s25, v3, vcc_lo
	v_lshlrev_b64 v[6:7], 2, v[8:9]
	v_add_co_u32 v4, vcc_lo, s24, v4
	v_add_co_ci_u32_e64 v5, null, s25, v5, vcc_lo
	v_add_co_u32 v6, vcc_lo, s24, v6
	v_add_co_ci_u32_e64 v7, null, s25, v7, vcc_lo
	global_store_dword v[0:1], v10, off
	global_store_dword v[2:3], v11, off
	global_store_dword v[4:5], v12, off
	global_store_dword v[6:7], v13, off
.LBB2_32:
	s_endpgm
	.section	.rodata,"a",@progbits
	.p2align	6, 0x0
	.amdhsa_kernel _ZL11fasten_mainILm4EEviiPK4AtomS2_PKfS4_S4_S4_S4_S4_PfPK8FFParamsi
		.amdhsa_group_segment_fixed_size 0
		.amdhsa_private_segment_fixed_size 224
		.amdhsa_kernarg_size 352
		.amdhsa_user_sgpr_count 6
		.amdhsa_user_sgpr_private_segment_buffer 1
		.amdhsa_user_sgpr_dispatch_ptr 0
		.amdhsa_user_sgpr_queue_ptr 0
		.amdhsa_user_sgpr_kernarg_segment_ptr 1
		.amdhsa_user_sgpr_dispatch_id 0
		.amdhsa_user_sgpr_flat_scratch_init 0
		.amdhsa_user_sgpr_private_segment_size 0
		.amdhsa_wavefront_size32 1
		.amdhsa_uses_dynamic_stack 0
		.amdhsa_system_sgpr_private_segment_wavefront_offset 1
		.amdhsa_system_sgpr_workgroup_id_x 1
		.amdhsa_system_sgpr_workgroup_id_y 0
		.amdhsa_system_sgpr_workgroup_id_z 0
		.amdhsa_system_sgpr_workgroup_info 0
		.amdhsa_system_vgpr_workitem_id 0
		.amdhsa_next_free_vgpr 106
		.amdhsa_next_free_sgpr 52
		.amdhsa_reserve_vcc 1
		.amdhsa_reserve_flat_scratch 0
		.amdhsa_float_round_mode_32 0
		.amdhsa_float_round_mode_16_64 0
		.amdhsa_float_denorm_mode_32 3
		.amdhsa_float_denorm_mode_16_64 3
		.amdhsa_dx10_clamp 1
		.amdhsa_ieee_mode 1
		.amdhsa_fp16_overflow 0
		.amdhsa_workgroup_processor_mode 1
		.amdhsa_memory_ordered 1
		.amdhsa_forward_progress 1
		.amdhsa_shared_vgpr_count 0
		.amdhsa_exception_fp_ieee_invalid_op 0
		.amdhsa_exception_fp_denorm_src 0
		.amdhsa_exception_fp_ieee_div_zero 0
		.amdhsa_exception_fp_ieee_overflow 0
		.amdhsa_exception_fp_ieee_underflow 0
		.amdhsa_exception_fp_ieee_inexact 0
		.amdhsa_exception_int_div_zero 0
	.end_amdhsa_kernel
	.section	.text._ZL11fasten_mainILm4EEviiPK4AtomS2_PKfS4_S4_S4_S4_S4_PfPK8FFParamsi,"axG",@progbits,_ZL11fasten_mainILm4EEviiPK4AtomS2_PKfS4_S4_S4_S4_S4_PfPK8FFParamsi,comdat
.Lfunc_end2:
	.size	_ZL11fasten_mainILm4EEviiPK4AtomS2_PKfS4_S4_S4_S4_S4_PfPK8FFParamsi, .Lfunc_end2-_ZL11fasten_mainILm4EEviiPK4AtomS2_PKfS4_S4_S4_S4_S4_PfPK8FFParamsi
                                        ; -- End function
	.set _ZL11fasten_mainILm4EEviiPK4AtomS2_PKfS4_S4_S4_S4_S4_PfPK8FFParamsi.num_vgpr, 106
	.set _ZL11fasten_mainILm4EEviiPK4AtomS2_PKfS4_S4_S4_S4_S4_PfPK8FFParamsi.num_agpr, 0
	.set _ZL11fasten_mainILm4EEviiPK4AtomS2_PKfS4_S4_S4_S4_S4_PfPK8FFParamsi.numbered_sgpr, 52
	.set _ZL11fasten_mainILm4EEviiPK4AtomS2_PKfS4_S4_S4_S4_S4_PfPK8FFParamsi.num_named_barrier, 0
	.set _ZL11fasten_mainILm4EEviiPK4AtomS2_PKfS4_S4_S4_S4_S4_PfPK8FFParamsi.private_seg_size, 224
	.set _ZL11fasten_mainILm4EEviiPK4AtomS2_PKfS4_S4_S4_S4_S4_PfPK8FFParamsi.uses_vcc, 1
	.set _ZL11fasten_mainILm4EEviiPK4AtomS2_PKfS4_S4_S4_S4_S4_PfPK8FFParamsi.uses_flat_scratch, 0
	.set _ZL11fasten_mainILm4EEviiPK4AtomS2_PKfS4_S4_S4_S4_S4_PfPK8FFParamsi.has_dyn_sized_stack, 0
	.set _ZL11fasten_mainILm4EEviiPK4AtomS2_PKfS4_S4_S4_S4_S4_PfPK8FFParamsi.has_recursion, 0
	.set _ZL11fasten_mainILm4EEviiPK4AtomS2_PKfS4_S4_S4_S4_S4_PfPK8FFParamsi.has_indirect_call, 0
	.section	.AMDGPU.csdata,"",@progbits
; Kernel info:
; codeLenInByte = 7392
; TotalNumSgprs: 54
; NumVgprs: 106
; ScratchSize: 224
; MemoryBound: 0
; FloatMode: 240
; IeeeMode: 1
; LDSByteSize: 0 bytes/workgroup (compile time only)
; SGPRBlocks: 0
; VGPRBlocks: 13
; NumSGPRsForWavesPerEU: 54
; NumVGPRsForWavesPerEU: 106
; Occupancy: 9
; WaveLimiterHint : 1
; COMPUTE_PGM_RSRC2:SCRATCH_EN: 1
; COMPUTE_PGM_RSRC2:USER_SGPR: 6
; COMPUTE_PGM_RSRC2:TRAP_HANDLER: 0
; COMPUTE_PGM_RSRC2:TGID_X_EN: 1
; COMPUTE_PGM_RSRC2:TGID_Y_EN: 0
; COMPUTE_PGM_RSRC2:TGID_Z_EN: 0
; COMPUTE_PGM_RSRC2:TIDIG_COMP_CNT: 0
	.section	.text._ZL11fasten_mainILm8EEviiPK4AtomS2_PKfS4_S4_S4_S4_S4_PfPK8FFParamsi,"axG",@progbits,_ZL11fasten_mainILm8EEviiPK4AtomS2_PKfS4_S4_S4_S4_S4_PfPK8FFParamsi,comdat
	.globl	_ZL11fasten_mainILm8EEviiPK4AtomS2_PKfS4_S4_S4_S4_S4_PfPK8FFParamsi ; -- Begin function _ZL11fasten_mainILm8EEviiPK4AtomS2_PKfS4_S4_S4_S4_S4_PfPK8FFParamsi
	.p2align	8
	.type	_ZL11fasten_mainILm8EEviiPK4AtomS2_PKfS4_S4_S4_S4_S4_PfPK8FFParamsi,@function
_ZL11fasten_mainILm8EEviiPK4AtomS2_PKfS4_S4_S4_S4_S4_PfPK8FFParamsi: ; @_ZL11fasten_mainILm8EEviiPK4AtomS2_PKfS4_S4_S4_S4_S4_PfPK8FFParamsi
; %bb.0:
	s_add_u32 s0, s0, s7
	s_clause 0x1
	s_load_dword s7, s[4:5], 0x6c
	s_load_dword s8, s[4:5], 0x58
	s_addc_u32 s1, s1, 0
	s_load_dwordx16 s[12:27], s[4:5], 0x8
	v_mov_b32_e32 v3, 0
	s_mov_b32 s9, 0
	s_mov_b32 s28, 32
	;; [unrolled: 1-line block ×5, first 2 shown]
	s_waitcnt lgkmcnt(0)
	s_and_b32 s11, s7, 0xffff
	s_add_i32 s7, s8, -8
	s_mul_i32 s6, s6, s11
	s_lshl_b32 s10, s11, 2
	v_lshl_add_u32 v1, s6, 3, v0
	v_mov_b32_e32 v0, v1
	v_cmp_gt_i32_e64 s6, s8, v1
	buffer_store_dword v0, off, s[0:3], 0 offset:496 ; 4-byte Folded Spill
	buffer_store_dword v1, off, s[0:3], 0 offset:500 ; 4-byte Folded Spill
	v_cndmask_b32_e64 v0, s7, v1, s6
	v_ashrrev_i32_e32 v1, 31, v0
	v_lshlrev_b64 v[0:1], 2, v[0:1]
	s_branch .LBB3_2
.LBB3_1:                                ;   in Loop: Header=BB3_2 Depth=1
	s_or_b32 exec_lo, exec_lo, s7
	v_add_co_u32 v20, vcc_lo, s22, v0
	v_add_co_ci_u32_e64 v21, null, s23, v1, vcc_lo
	v_add_co_u32 v23, vcc_lo, s24, v0
	v_add_co_ci_u32_e64 v24, null, s25, v1, vcc_lo
	v_add_co_u32 v25, vcc_lo, s26, v0
	v_add_co_ci_u32_e64 v26, null, s27, v1, vcc_lo
	global_load_dword v20, v[20:21], off
	global_load_dword v21, v[23:24], off
	;; [unrolled: 1-line block ×3, first 2 shown]
	v_mul_f32_e32 v24, v18, v18
	v_mul_f32_e32 v26, v14, v14
	v_mul_f32_e32 v28, v12, v12
	v_and_b32_e32 v25, 1, v19
	v_mul_f32_e32 v30, v8, v8
	v_fmaak_f32 v38, s30, v24, 0x3c0881c4
	v_fmaak_f32 v39, s31, v24, 0xbab64f3b
	;; [unrolled: 1-line block ×10, first 2 shown]
	v_mul_f32_e32 v38, v24, v38
	v_fmaak_f32 v39, v24, v39, 0xbf000004
	v_and_b32_e32 v27, 1, v16
	v_mul_f32_e32 v32, v6, v6
	v_fmaak_f32 v44, s30, v30, 0x3c0881c4
	v_fmaak_f32 v45, s31, v30, 0xbab64f3b
	;; [unrolled: 1-line block ×4, first 2 shown]
	v_mul_f32_e32 v40, v26, v40
	v_fmaak_f32 v41, v26, v41, 0xbf000004
	v_fmac_f32_e32 v18, v18, v38
	v_fma_f32 v24, v24, v39, 1.0
	v_cmp_eq_u32_e32 vcc_lo, 0, v25
	v_and_b32_e32 v29, 1, v13
	v_mul_f32_e32 v34, v2, v2
	v_fmaak_f32 v46, s30, v32, 0x3c0881c4
	v_fmaak_f32 v47, s31, v32, 0xbab64f3b
	;; [unrolled: 1-line block ×4, first 2 shown]
	v_mul_f32_e32 v42, v28, v42
	v_fmaak_f32 v43, v28, v43, 0xbf000004
	v_fmac_f32_e32 v14, v14, v40
	v_fma_f32 v26, v26, v41, 1.0
	v_cndmask_b32_e32 v18, v24, v18, vcc_lo
	v_cmp_eq_u32_e32 vcc_lo, 0, v27
	v_and_b32_e32 v31, 1, v10
	v_fmaak_f32 v48, s30, v34, 0x3c0881c4
	v_fmaak_f32 v49, s31, v34, 0xbab64f3b
	;; [unrolled: 1-line block ×4, first 2 shown]
	v_mul_f32_e32 v44, v30, v44
	v_fmaak_f32 v45, v30, v45, 0xbf000004
	v_fmac_f32_e32 v12, v12, v42
	v_fma_f32 v28, v28, v43, 1.0
	v_cndmask_b32_e64 v14, -v14, v26, vcc_lo
	v_cmp_eq_u32_e32 vcc_lo, 0, v29
	v_and_b32_e32 v33, 1, v7
	v_fmaak_f32 v48, v34, v48, 0xbe2aaa9d
	v_fmaak_f32 v49, v34, v49, 0x3d2aabf7
	v_mul_f32_e32 v46, v32, v46
	v_fmaak_f32 v47, v32, v47, 0xbf000004
	v_fmac_f32_e32 v8, v8, v44
	v_fma_f32 v30, v30, v45, 1.0
	v_cndmask_b32_e32 v12, v28, v12, vcc_lo
	v_cmp_eq_u32_e32 vcc_lo, 0, v31
	v_and_b32_e32 v35, 1, v22
	v_mul_f32_e32 v48, v34, v48
	v_fmaak_f32 v49, v34, v49, 0xbf000004
	v_fmac_f32_e32 v6, v6, v46
	v_fma_f32 v32, v32, v47, 1.0
	v_cndmask_b32_e64 v8, -v8, v30, vcc_lo
	v_cmp_eq_u32_e32 vcc_lo, 0, v33
	v_lshlrev_b32_e32 v19, 30, v19
	v_lshlrev_b32_e32 v13, 30, v13
	;; [unrolled: 1-line block ×5, first 2 shown]
	v_fmac_f32_e32 v2, v2, v48
	v_fma_f32 v34, v34, v49, 1.0
	v_cndmask_b32_e32 v6, v32, v6, vcc_lo
	v_cmp_eq_u32_e32 vcc_lo, 0, v35
	v_lshlrev_b32_e32 v16, 30, v16
	v_xor_b32_e32 v17, v17, v15
	v_xor_b32_e32 v11, v11, v9
	;; [unrolled: 1-line block ×3, first 2 shown]
	v_and_b32_e32 v19, 0x80000000, v19
	v_and_b32_e32 v13, 0x80000000, v13
	v_and_b32_e32 v10, 0x80000000, v10
	v_and_b32_e32 v7, 0x80000000, v7
	v_and_b32_e32 v22, 0x80000000, v22
	v_cndmask_b32_e64 v2, -v2, v34, vcc_lo
	v_and_b32_e32 v16, 0x80000000, v16
	v_xor3_b32 v17, v17, v19, v18
	v_cmp_class_f32_e64 vcc_lo, v9, 0x1f8
	v_xor3_b32 v9, v11, v13, v12
	v_xor_b32_e32 v8, v10, v8
	v_cmp_class_f32_e64 s7, v4, 0x1f8
	v_xor3_b32 v4, v5, v7, v6
	v_cmp_class_f32_e64 s8, v15, 0x1f8
	v_xor_b32_e32 v2, v22, v2
	v_xor_b32_e32 v14, v16, v14
	v_cndmask_b32_e32 v7, 0x7fc00000, v9, vcc_lo
	v_cndmask_b32_e64 v8, 0x7fc00000, v8, s7
	v_cndmask_b32_e64 v5, 0x7fc00000, v17, s8
	;; [unrolled: 1-line block ×3, first 2 shown]
	v_mov_b32_e32 v37, s9
	s_add_i32 s9, s9, 4
	s_add_u32 s16, s16, s10
	s_addc_u32 s17, s17, 0
	v_cndmask_b32_e64 v2, 0x7fc00000, v2, s8
	s_add_u32 s18, s18, s10
	v_cndmask_b32_e32 v6, 0x7fc00000, v14, vcc_lo
	s_addc_u32 s19, s19, 0
	v_mul_f32_e32 v10, v4, v7
	v_mul_f32_e32 v11, v8, v5
	;; [unrolled: 1-line block ×3, first 2 shown]
	s_add_u32 s20, s20, s10
	s_addc_u32 s21, s21, 0
	s_add_u32 s22, s22, s10
	v_mul_f32_e32 v14, v8, v2
	v_mov_b32_e32 v36, s28
	s_addc_u32 s23, s23, 0
	v_mul_f32_e32 v9, v6, v2
	v_mul_f32_e32 v15, v4, v2
	s_add_u32 s24, s24, s10
	v_mul_f32_e32 v13, v6, v5
	v_mul_f32_e32 v16, v4, v6
	;; [unrolled: 1-line block ×3, first 2 shown]
	v_fma_f32 v8, v10, v2, -v11
	v_mul_f32_e32 v2, v12, v2
	s_addc_u32 s25, s25, 0
	v_xor_b32_e32 v7, 0x80000000, v7
	s_add_u32 s26, s26, s10
	s_addc_u32 s27, s27, 0
	s_add_i32 s28, s28, 48
	v_fmac_f32_e32 v14, v10, v5
	s_cmp_lg_u32 s9, 32
	buffer_store_dword v9, v36, s[0:3], 0 offen
	v_fma_f32 v9, v12, v5, -v15
	v_fmac_f32_e32 v2, v4, v5
	buffer_store_dword v13, v36, s[0:3], 0 offen offset:16
	buffer_store_dword v7, v36, s[0:3], 0 offen offset:32
	;; [unrolled: 1-line block ×8, first 2 shown]
	s_waitcnt vmcnt(2)
	buffer_store_dword v20, v36, s[0:3], 0 offen offset:12
	s_waitcnt vmcnt(1)
	buffer_store_dword v21, v36, s[0:3], 0 offen offset:28
	;; [unrolled: 2-line block ×3, first 2 shown]
	buffer_store_dword v3, v37, s[0:3], 0 offen
	s_cbranch_scc0 .LBB3_26
.LBB3_2:                                ; =>This Inner Loop Header: Depth=1
	v_add_co_u32 v4, vcc_lo, s16, v0
	v_add_co_ci_u32_e64 v5, null, s17, v1, vcc_lo
                                        ; implicit-def: $vgpr7
                                        ; implicit-def: $vgpr6
	global_load_dword v4, v[4:5], off
	s_waitcnt vmcnt(0)
	v_and_b32_e32 v5, 0x7fffffff, v4
	v_cmp_ngt_f32_e64 s33, 0x48000000, |v4|
	v_lshrrev_b32_e32 v2, 23, v5
	v_and_or_b32 v9, v5, s29, 0x800000
	v_add_nc_u32_e32 v11, 0xffffff88, v2
	s_and_saveexec_b32 s7, s33
	s_xor_b32 s34, exec_lo, s7
	s_cbranch_execz .LBB3_4
; %bb.3:                                ;   in Loop: Header=BB3_2 Depth=1
	v_mad_u64_u32 v[6:7], null, 0xfe5163ab, v9, 0
	v_cmp_lt_u32_e32 vcc_lo, 63, v11
	v_mov_b32_e32 v2, v7
	v_mad_u64_u32 v[7:8], null, 0x3c439041, v9, v[2:3]
	v_mov_b32_e32 v2, v8
	v_cndmask_b32_e64 v8, 0, 0xffffffc0, vcc_lo
	v_mad_u64_u32 v[12:13], null, 0xdb629599, v9, v[2:3]
	v_add_nc_u32_e32 v8, v8, v11
	v_cmp_lt_u32_e64 s7, 31, v8
	v_mov_b32_e32 v2, v13
	v_cndmask_b32_e32 v6, v12, v6, vcc_lo
	v_cndmask_b32_e64 v10, 0, 0xffffffe0, s7
	v_mad_u64_u32 v[13:14], null, 0xf534ddc0, v9, v[2:3]
	v_add_nc_u32_e32 v8, v10, v8
	v_mov_b32_e32 v2, v14
	v_cmp_lt_u32_e64 s8, 31, v8
	v_cndmask_b32_e32 v7, v13, v7, vcc_lo
	v_mad_u64_u32 v[14:15], null, 0xfc2757d1, v9, v[2:3]
	v_cndmask_b32_e64 v6, v7, v6, s7
	v_mov_b32_e32 v2, v15
	v_mad_u64_u32 v[15:16], null, 0x4e441529, v9, v[2:3]
	v_mov_b32_e32 v2, v16
	v_cndmask_b32_e32 v10, v15, v13, vcc_lo
	v_mad_u64_u32 v[16:17], null, 0xa2f9836e, v9, v[2:3]
	v_cndmask_b32_e64 v2, 0, 0xffffffe0, s8
	v_add_nc_u32_e32 v2, v2, v8
	v_cndmask_b32_e32 v16, v16, v14, vcc_lo
	v_cndmask_b32_e32 v15, v17, v15, vcc_lo
	v_cndmask_b32_e32 v14, v14, v12, vcc_lo
	v_cmp_eq_u32_e32 vcc_lo, 0, v2
	v_cndmask_b32_e64 v8, v16, v10, s7
	v_cndmask_b32_e64 v13, v15, v16, s7
	;; [unrolled: 1-line block ×3, first 2 shown]
	v_sub_nc_u32_e32 v15, 32, v2
	v_cndmask_b32_e64 v14, v14, v7, s7
	v_cndmask_b32_e64 v13, v13, v8, s8
	;; [unrolled: 1-line block ×5, first 2 shown]
	v_alignbit_b32 v16, v13, v8, v15
	v_alignbit_b32 v12, v8, v10, v15
	;; [unrolled: 1-line block ×3, first 2 shown]
	v_cndmask_b32_e32 v2, v16, v13, vcc_lo
	v_cndmask_b32_e32 v7, v12, v8, vcc_lo
	v_cndmask_b32_e32 v10, v14, v10, vcc_lo
	v_bfe_u32 v8, v2, 29, 1
	v_alignbit_b32 v12, v2, v7, 30
	v_alignbit_b32 v7, v7, v10, 30
	;; [unrolled: 1-line block ×3, first 2 shown]
	v_sub_nc_u32_e32 v13, 0, v8
	v_xor_b32_e32 v12, v12, v13
	v_xor_b32_e32 v7, v7, v13
	;; [unrolled: 1-line block ×3, first 2 shown]
	v_lshrrev_b32_e32 v13, 29, v2
	v_lshrrev_b32_e32 v2, 30, v2
	v_ffbh_u32_e32 v14, v12
	v_min_u32_e32 v14, 32, v14
	v_sub_nc_u32_e32 v10, 31, v14
	v_lshlrev_b32_e32 v15, 23, v14
	v_alignbit_b32 v12, v12, v7, v10
	v_alignbit_b32 v6, v7, v6, v10
	v_lshlrev_b32_e32 v7, 31, v13
	v_alignbit_b32 v10, v12, v6, 9
	v_or_b32_e32 v13, 0.5, v7
	v_lshrrev_b32_e32 v12, 9, v12
	v_or_b32_e32 v7, 0x33000000, v7
	v_ffbh_u32_e32 v16, v10
	v_sub_nc_u32_e32 v13, v13, v15
	v_min_u32_e32 v15, 32, v16
	v_or_b32_e32 v12, v12, v13
	v_not_b32_e32 v13, v15
	v_mul_f32_e32 v16, 0x3fc90fda, v12
	v_add_lshl_u32 v14, v15, v14, 23
	v_alignbit_b32 v6, v10, v6, v13
	v_fma_f32 v10, 0x3fc90fda, v12, -v16
	v_sub_nc_u32_e32 v7, v7, v14
	v_lshrrev_b32_e32 v6, 9, v6
	v_fmac_f32_e32 v10, 0x33a22168, v12
	v_or_b32_e32 v6, v7, v6
	v_add_nc_u32_e32 v7, v8, v2
	v_fmac_f32_e32 v10, 0x3fc90fda, v6
	v_add_f32_e32 v6, v16, v10
.LBB3_4:                                ;   in Loop: Header=BB3_2 Depth=1
	s_or_saveexec_b32 s7, s34
	v_mul_f32_e64 v2, 0x3f22f983, |v4|
	v_rndne_f32_e32 v2, v2
	s_xor_b32 exec_lo, exec_lo, s7
; %bb.5:                                ;   in Loop: Header=BB3_2 Depth=1
	v_fma_f32 v6, 0xbfc90fda, v2, |v4|
	v_cvt_i32_f32_e32 v7, v2
	v_fmac_f32_e32 v6, 0xb3a22168, v2
	v_fmac_f32_e32 v6, 0xa7c234c4, v2
; %bb.6:                                ;   in Loop: Header=BB3_2 Depth=1
	s_or_b32 exec_lo, exec_lo, s7
                                        ; implicit-def: $vgpr10
                                        ; implicit-def: $vgpr8
	s_and_saveexec_b32 s7, s33
	s_xor_b32 s33, exec_lo, s7
	s_cbranch_execz .LBB3_8
; %bb.7:                                ;   in Loop: Header=BB3_2 Depth=1
	v_mad_u64_u32 v[12:13], null, 0xfe5163ab, v9, 0
	v_cmp_lt_u32_e32 vcc_lo, 63, v11
	v_cndmask_b32_e64 v8, 0, 0xffffffc0, vcc_lo
	v_mov_b32_e32 v2, v13
	v_add_nc_u32_e32 v8, v8, v11
	v_mad_u64_u32 v[13:14], null, 0x3c439041, v9, v[2:3]
	v_cmp_lt_u32_e64 s7, 31, v8
	v_mov_b32_e32 v2, v14
	v_mad_u64_u32 v[14:15], null, 0xdb629599, v9, v[2:3]
	v_mov_b32_e32 v2, v15
	v_cndmask_b32_e32 v12, v14, v12, vcc_lo
	v_mad_u64_u32 v[15:16], null, 0xf534ddc0, v9, v[2:3]
	v_mov_b32_e32 v2, v16
	v_mad_u64_u32 v[16:17], null, 0xfc2757d1, v9, v[2:3]
	v_mov_b32_e32 v2, v17
	v_cndmask_b32_e64 v17, 0, 0xffffffe0, s7
	v_mad_u64_u32 v[10:11], null, 0x4e441529, v9, v[2:3]
	v_mov_b32_e32 v2, v11
	v_add_nc_u32_e32 v11, v17, v8
	v_cndmask_b32_e32 v17, v10, v15, vcc_lo
	v_mad_u64_u32 v[8:9], null, 0xa2f9836e, v9, v[2:3]
	v_cmp_lt_u32_e64 s8, 31, v11
	v_cndmask_b32_e64 v2, 0, 0xffffffe0, s8
	v_cndmask_b32_e32 v8, v8, v16, vcc_lo
	v_cndmask_b32_e32 v9, v9, v10, vcc_lo
	;; [unrolled: 1-line block ×3, first 2 shown]
	v_add_nc_u32_e32 v2, v2, v11
	v_cndmask_b32_e32 v11, v15, v13, vcc_lo
	v_cndmask_b32_e64 v13, v8, v17, s7
	v_cndmask_b32_e64 v8, v9, v8, s7
	;; [unrolled: 1-line block ×3, first 2 shown]
	v_sub_nc_u32_e32 v15, 32, v2
	v_cndmask_b32_e64 v10, v10, v11, s7
	v_cmp_eq_u32_e32 vcc_lo, 0, v2
	v_cndmask_b32_e64 v8, v8, v13, s8
	v_cndmask_b32_e64 v13, v13, v9, s8
	;; [unrolled: 1-line block ×3, first 2 shown]
	v_alignbit_b32 v16, v8, v13, v15
	v_alignbit_b32 v14, v13, v9, v15
	v_cndmask_b32_e32 v2, v16, v8, vcc_lo
	v_cndmask_b32_e64 v8, v11, v12, s7
	v_cndmask_b32_e32 v11, v14, v13, vcc_lo
	v_bfe_u32 v12, v2, 29, 1
	v_cndmask_b32_e64 v8, v10, v8, s8
	v_alignbit_b32 v10, v2, v11, 30
	v_sub_nc_u32_e32 v13, 0, v12
	v_alignbit_b32 v14, v9, v8, v15
	v_xor_b32_e32 v10, v10, v13
	v_cndmask_b32_e32 v9, v14, v9, vcc_lo
	v_ffbh_u32_e32 v14, v10
	v_alignbit_b32 v11, v11, v9, 30
	v_alignbit_b32 v8, v9, v8, 30
	v_min_u32_e32 v14, 32, v14
	v_xor_b32_e32 v9, v11, v13
	v_xor_b32_e32 v8, v8, v13
	v_lshrrev_b32_e32 v13, 29, v2
	v_lshrrev_b32_e32 v2, 30, v2
	v_sub_nc_u32_e32 v11, 31, v14
	v_lshlrev_b32_e32 v15, 23, v14
	v_alignbit_b32 v10, v10, v9, v11
	v_alignbit_b32 v8, v9, v8, v11
	v_lshlrev_b32_e32 v9, 31, v13
	v_alignbit_b32 v11, v10, v8, 9
	v_or_b32_e32 v13, 0.5, v9
	v_lshrrev_b32_e32 v10, 9, v10
	v_or_b32_e32 v9, 0x33000000, v9
	v_ffbh_u32_e32 v16, v11
	v_sub_nc_u32_e32 v13, v13, v15
	v_min_u32_e32 v15, 32, v16
	v_or_b32_e32 v10, v10, v13
	v_not_b32_e32 v13, v15
	v_mul_f32_e32 v16, 0x3fc90fda, v10
	v_add_lshl_u32 v14, v15, v14, 23
	v_alignbit_b32 v8, v11, v8, v13
	v_fma_f32 v11, 0x3fc90fda, v10, -v16
	v_sub_nc_u32_e32 v9, v9, v14
	v_lshrrev_b32_e32 v8, 9, v8
	v_fmac_f32_e32 v11, 0x33a22168, v10
	v_add_nc_u32_e32 v10, v12, v2
                                        ; implicit-def: $vgpr2
	v_or_b32_e32 v8, v9, v8
	v_fmac_f32_e32 v11, 0x3fc90fda, v8
	v_add_f32_e32 v8, v16, v11
	s_andn2_saveexec_b32 s7, s33
	s_cbranch_execnz .LBB3_9
	s_branch .LBB3_10
.LBB3_8:                                ;   in Loop: Header=BB3_2 Depth=1
	s_andn2_saveexec_b32 s7, s33
.LBB3_9:                                ;   in Loop: Header=BB3_2 Depth=1
	v_fma_f32 v8, 0xbfc90fda, v2, |v4|
	v_cvt_i32_f32_e32 v10, v2
	v_fmac_f32_e32 v8, 0xb3a22168, v2
	v_fmac_f32_e32 v8, 0xa7c234c4, v2
.LBB3_10:                               ;   in Loop: Header=BB3_2 Depth=1
	s_or_b32 exec_lo, exec_lo, s7
	v_add_co_u32 v11, vcc_lo, s18, v0
	v_add_co_ci_u32_e64 v12, null, s19, v1, vcc_lo
                                        ; implicit-def: $vgpr13
	global_load_dword v9, v[11:12], off
                                        ; implicit-def: $vgpr12
	s_waitcnt vmcnt(0)
	v_and_b32_e32 v11, 0x7fffffff, v9
	v_cmp_ngt_f32_e64 s33, 0x48000000, |v9|
	v_lshrrev_b32_e32 v2, 23, v11
	v_and_or_b32 v15, v11, s29, 0x800000
	v_add_nc_u32_e32 v17, 0xffffff88, v2
	s_and_saveexec_b32 s7, s33
	s_xor_b32 s34, exec_lo, s7
	s_cbranch_execz .LBB3_12
; %bb.11:                               ;   in Loop: Header=BB3_2 Depth=1
	v_mad_u64_u32 v[12:13], null, 0xfe5163ab, v15, 0
	v_cmp_lt_u32_e32 vcc_lo, 63, v17
	v_mov_b32_e32 v2, v13
	v_mad_u64_u32 v[13:14], null, 0x3c439041, v15, v[2:3]
	v_mov_b32_e32 v2, v14
	v_cndmask_b32_e64 v14, 0, 0xffffffc0, vcc_lo
	v_mad_u64_u32 v[18:19], null, 0xdb629599, v15, v[2:3]
	v_add_nc_u32_e32 v14, v14, v17
	v_cmp_lt_u32_e64 s7, 31, v14
	v_mov_b32_e32 v2, v19
	v_cndmask_b32_e32 v12, v18, v12, vcc_lo
	v_cndmask_b32_e64 v16, 0, 0xffffffe0, s7
	v_mad_u64_u32 v[19:20], null, 0xf534ddc0, v15, v[2:3]
	v_add_nc_u32_e32 v14, v16, v14
	v_mov_b32_e32 v2, v20
	v_cmp_lt_u32_e64 s8, 31, v14
	v_cndmask_b32_e32 v13, v19, v13, vcc_lo
	v_mad_u64_u32 v[20:21], null, 0xfc2757d1, v15, v[2:3]
	v_cndmask_b32_e64 v12, v13, v12, s7
	v_mov_b32_e32 v2, v21
	v_mad_u64_u32 v[21:22], null, 0x4e441529, v15, v[2:3]
	v_mov_b32_e32 v2, v22
	v_cndmask_b32_e32 v16, v21, v19, vcc_lo
	v_mad_u64_u32 v[22:23], null, 0xa2f9836e, v15, v[2:3]
	v_cndmask_b32_e64 v2, 0, 0xffffffe0, s8
	v_add_nc_u32_e32 v2, v2, v14
	v_cndmask_b32_e32 v22, v22, v20, vcc_lo
	v_cndmask_b32_e32 v21, v23, v21, vcc_lo
	;; [unrolled: 1-line block ×3, first 2 shown]
	v_cmp_eq_u32_e32 vcc_lo, 0, v2
	v_cndmask_b32_e64 v14, v22, v16, s7
	v_cndmask_b32_e64 v19, v21, v22, s7
	;; [unrolled: 1-line block ×3, first 2 shown]
	v_sub_nc_u32_e32 v21, 32, v2
	v_cndmask_b32_e64 v20, v20, v13, s7
	v_cndmask_b32_e64 v19, v19, v14, s8
	;; [unrolled: 1-line block ×5, first 2 shown]
	v_alignbit_b32 v22, v19, v14, v21
	v_alignbit_b32 v18, v14, v16, v21
	;; [unrolled: 1-line block ×3, first 2 shown]
	v_cndmask_b32_e32 v2, v22, v19, vcc_lo
	v_cndmask_b32_e32 v13, v18, v14, vcc_lo
	;; [unrolled: 1-line block ×3, first 2 shown]
	v_bfe_u32 v14, v2, 29, 1
	v_alignbit_b32 v18, v2, v13, 30
	v_alignbit_b32 v13, v13, v16, 30
	v_alignbit_b32 v12, v16, v12, 30
	v_sub_nc_u32_e32 v19, 0, v14
	v_xor_b32_e32 v18, v18, v19
	v_xor_b32_e32 v13, v13, v19
	;; [unrolled: 1-line block ×3, first 2 shown]
	v_lshrrev_b32_e32 v19, 29, v2
	v_lshrrev_b32_e32 v2, 30, v2
	v_ffbh_u32_e32 v20, v18
	v_min_u32_e32 v20, 32, v20
	v_sub_nc_u32_e32 v16, 31, v20
	v_lshlrev_b32_e32 v21, 23, v20
	v_alignbit_b32 v18, v18, v13, v16
	v_alignbit_b32 v12, v13, v12, v16
	v_lshlrev_b32_e32 v13, 31, v19
	v_alignbit_b32 v16, v18, v12, 9
	v_or_b32_e32 v19, 0.5, v13
	v_lshrrev_b32_e32 v18, 9, v18
	v_or_b32_e32 v13, 0x33000000, v13
	v_ffbh_u32_e32 v22, v16
	v_sub_nc_u32_e32 v19, v19, v21
	v_min_u32_e32 v21, 32, v22
	v_or_b32_e32 v18, v18, v19
	v_not_b32_e32 v19, v21
	v_mul_f32_e32 v22, 0x3fc90fda, v18
	v_add_lshl_u32 v20, v21, v20, 23
	v_alignbit_b32 v12, v16, v12, v19
	v_fma_f32 v16, 0x3fc90fda, v18, -v22
	v_sub_nc_u32_e32 v13, v13, v20
	v_lshrrev_b32_e32 v12, 9, v12
	v_fmac_f32_e32 v16, 0x33a22168, v18
	v_or_b32_e32 v12, v13, v12
	v_add_nc_u32_e32 v13, v14, v2
	v_fmac_f32_e32 v16, 0x3fc90fda, v12
	v_add_f32_e32 v12, v22, v16
.LBB3_12:                               ;   in Loop: Header=BB3_2 Depth=1
	s_or_saveexec_b32 s7, s34
	v_mul_f32_e64 v2, 0x3f22f983, |v9|
	v_rndne_f32_e32 v2, v2
	s_xor_b32 exec_lo, exec_lo, s7
; %bb.13:                               ;   in Loop: Header=BB3_2 Depth=1
	v_fma_f32 v12, 0xbfc90fda, v2, |v9|
	v_cvt_i32_f32_e32 v13, v2
	v_fmac_f32_e32 v12, 0xb3a22168, v2
	v_fmac_f32_e32 v12, 0xa7c234c4, v2
; %bb.14:                               ;   in Loop: Header=BB3_2 Depth=1
	s_or_b32 exec_lo, exec_lo, s7
                                        ; implicit-def: $vgpr16
                                        ; implicit-def: $vgpr14
	s_and_saveexec_b32 s7, s33
	s_xor_b32 s33, exec_lo, s7
	s_cbranch_execz .LBB3_16
; %bb.15:                               ;   in Loop: Header=BB3_2 Depth=1
	v_mad_u64_u32 v[18:19], null, 0xfe5163ab, v15, 0
	v_cmp_lt_u32_e32 vcc_lo, 63, v17
	v_cndmask_b32_e64 v14, 0, 0xffffffc0, vcc_lo
	v_mov_b32_e32 v2, v19
	v_add_nc_u32_e32 v14, v14, v17
	v_mad_u64_u32 v[19:20], null, 0x3c439041, v15, v[2:3]
	v_cmp_lt_u32_e64 s7, 31, v14
	v_mov_b32_e32 v2, v20
	v_mad_u64_u32 v[20:21], null, 0xdb629599, v15, v[2:3]
	v_mov_b32_e32 v2, v21
	v_cndmask_b32_e32 v18, v20, v18, vcc_lo
	v_mad_u64_u32 v[21:22], null, 0xf534ddc0, v15, v[2:3]
	v_mov_b32_e32 v2, v22
	v_mad_u64_u32 v[22:23], null, 0xfc2757d1, v15, v[2:3]
	v_mov_b32_e32 v2, v23
	v_cndmask_b32_e64 v23, 0, 0xffffffe0, s7
	v_mad_u64_u32 v[16:17], null, 0x4e441529, v15, v[2:3]
	v_mov_b32_e32 v2, v17
	v_add_nc_u32_e32 v17, v23, v14
	v_cndmask_b32_e32 v23, v16, v21, vcc_lo
	v_mad_u64_u32 v[14:15], null, 0xa2f9836e, v15, v[2:3]
	v_cmp_lt_u32_e64 s8, 31, v17
	v_cndmask_b32_e64 v2, 0, 0xffffffe0, s8
	v_cndmask_b32_e32 v14, v14, v22, vcc_lo
	v_cndmask_b32_e32 v15, v15, v16, vcc_lo
	;; [unrolled: 1-line block ×3, first 2 shown]
	v_add_nc_u32_e32 v2, v2, v17
	v_cndmask_b32_e32 v17, v21, v19, vcc_lo
	v_cndmask_b32_e64 v19, v14, v23, s7
	v_cndmask_b32_e64 v14, v15, v14, s7
	;; [unrolled: 1-line block ×3, first 2 shown]
	v_sub_nc_u32_e32 v21, 32, v2
	v_cndmask_b32_e64 v16, v16, v17, s7
	v_cmp_eq_u32_e32 vcc_lo, 0, v2
	v_cndmask_b32_e64 v14, v14, v19, s8
	v_cndmask_b32_e64 v19, v19, v15, s8
	;; [unrolled: 1-line block ×3, first 2 shown]
	v_alignbit_b32 v22, v14, v19, v21
	v_alignbit_b32 v20, v19, v15, v21
	v_cndmask_b32_e32 v2, v22, v14, vcc_lo
	v_cndmask_b32_e64 v14, v17, v18, s7
	v_cndmask_b32_e32 v17, v20, v19, vcc_lo
	v_bfe_u32 v18, v2, 29, 1
	v_cndmask_b32_e64 v14, v16, v14, s8
	v_alignbit_b32 v16, v2, v17, 30
	v_sub_nc_u32_e32 v19, 0, v18
	v_alignbit_b32 v20, v15, v14, v21
	v_xor_b32_e32 v16, v16, v19
	v_cndmask_b32_e32 v15, v20, v15, vcc_lo
	v_ffbh_u32_e32 v20, v16
	v_alignbit_b32 v17, v17, v15, 30
	v_alignbit_b32 v14, v15, v14, 30
	v_min_u32_e32 v20, 32, v20
	v_xor_b32_e32 v15, v17, v19
	v_xor_b32_e32 v14, v14, v19
	v_lshrrev_b32_e32 v19, 29, v2
	v_lshrrev_b32_e32 v2, 30, v2
	v_sub_nc_u32_e32 v17, 31, v20
	v_lshlrev_b32_e32 v21, 23, v20
	v_alignbit_b32 v16, v16, v15, v17
	v_alignbit_b32 v14, v15, v14, v17
	v_lshlrev_b32_e32 v15, 31, v19
	v_alignbit_b32 v17, v16, v14, 9
	v_or_b32_e32 v19, 0.5, v15
	v_lshrrev_b32_e32 v16, 9, v16
	v_or_b32_e32 v15, 0x33000000, v15
	v_ffbh_u32_e32 v22, v17
	v_sub_nc_u32_e32 v19, v19, v21
	v_min_u32_e32 v21, 32, v22
	v_or_b32_e32 v16, v16, v19
	v_not_b32_e32 v19, v21
	v_mul_f32_e32 v22, 0x3fc90fda, v16
	v_add_lshl_u32 v20, v21, v20, 23
	v_alignbit_b32 v14, v17, v14, v19
	v_fma_f32 v17, 0x3fc90fda, v16, -v22
	v_sub_nc_u32_e32 v15, v15, v20
	v_lshrrev_b32_e32 v14, 9, v14
	v_fmac_f32_e32 v17, 0x33a22168, v16
	v_add_nc_u32_e32 v16, v18, v2
                                        ; implicit-def: $vgpr2
	v_or_b32_e32 v14, v15, v14
	v_fmac_f32_e32 v17, 0x3fc90fda, v14
	v_add_f32_e32 v14, v22, v17
	s_andn2_saveexec_b32 s7, s33
	s_cbranch_execnz .LBB3_17
	s_branch .LBB3_18
.LBB3_16:                               ;   in Loop: Header=BB3_2 Depth=1
	s_andn2_saveexec_b32 s7, s33
.LBB3_17:                               ;   in Loop: Header=BB3_2 Depth=1
	v_fma_f32 v14, 0xbfc90fda, v2, |v9|
	v_cvt_i32_f32_e32 v16, v2
	v_fmac_f32_e32 v14, 0xb3a22168, v2
	v_fmac_f32_e32 v14, 0xa7c234c4, v2
.LBB3_18:                               ;   in Loop: Header=BB3_2 Depth=1
	s_or_b32 exec_lo, exec_lo, s7
	v_add_co_u32 v17, vcc_lo, s20, v0
	v_add_co_ci_u32_e64 v18, null, s21, v1, vcc_lo
                                        ; implicit-def: $vgpr19
	global_load_dword v15, v[17:18], off
                                        ; implicit-def: $vgpr18
	s_waitcnt vmcnt(0)
	v_and_b32_e32 v17, 0x7fffffff, v15
	v_cmp_ngt_f32_e64 s33, 0x48000000, |v15|
	v_lshrrev_b32_e32 v2, 23, v17
	v_and_or_b32 v20, v17, s29, 0x800000
	v_add_nc_u32_e32 v21, 0xffffff88, v2
	s_and_saveexec_b32 s7, s33
	s_xor_b32 s34, exec_lo, s7
	s_cbranch_execz .LBB3_20
; %bb.19:                               ;   in Loop: Header=BB3_2 Depth=1
	v_mad_u64_u32 v[18:19], null, 0xfe5163ab, v20, 0
	v_cmp_lt_u32_e32 vcc_lo, 63, v21
	v_mov_b32_e32 v2, v19
	v_cndmask_b32_e64 v19, 0, 0xffffffc0, vcc_lo
	v_mad_u64_u32 v[22:23], null, 0x3c439041, v20, v[2:3]
	v_add_nc_u32_e32 v19, v19, v21
	v_cmp_lt_u32_e64 s7, 31, v19
	v_mov_b32_e32 v2, v23
	v_cndmask_b32_e64 v28, 0, 0xffffffe0, s7
	v_mad_u64_u32 v[23:24], null, 0xdb629599, v20, v[2:3]
	v_add_nc_u32_e32 v19, v28, v19
	v_mov_b32_e32 v2, v24
	v_cmp_lt_u32_e64 s8, 31, v19
	v_cndmask_b32_e32 v18, v23, v18, vcc_lo
	v_mad_u64_u32 v[24:25], null, 0xf534ddc0, v20, v[2:3]
	v_mov_b32_e32 v2, v25
	v_mad_u64_u32 v[25:26], null, 0xfc2757d1, v20, v[2:3]
	v_mov_b32_e32 v2, v26
	;; [unrolled: 2-line block ×3, first 2 shown]
	v_cndmask_b32_e32 v29, v26, v24, vcc_lo
	v_mad_u64_u32 v[27:28], null, 0xa2f9836e, v20, v[2:3]
	v_cndmask_b32_e64 v2, 0, 0xffffffe0, s8
	v_add_nc_u32_e32 v2, v2, v19
	v_cndmask_b32_e32 v27, v27, v25, vcc_lo
	v_cndmask_b32_e32 v26, v28, v26, vcc_lo
	;; [unrolled: 1-line block ×4, first 2 shown]
	v_cmp_eq_u32_e32 vcc_lo, 0, v2
	v_cndmask_b32_e64 v22, v27, v29, s7
	v_cndmask_b32_e64 v24, v26, v27, s7
	;; [unrolled: 1-line block ×3, first 2 shown]
	v_sub_nc_u32_e32 v27, 32, v2
	v_cndmask_b32_e64 v25, v25, v19, s7
	v_cndmask_b32_e64 v18, v19, v18, s7
	;; [unrolled: 1-line block ×6, first 2 shown]
	v_alignbit_b32 v28, v24, v22, v27
	v_alignbit_b32 v23, v22, v26, v27
	v_alignbit_b32 v25, v26, v18, v27
	v_cndmask_b32_e32 v2, v28, v24, vcc_lo
	v_cndmask_b32_e32 v19, v23, v22, vcc_lo
	;; [unrolled: 1-line block ×3, first 2 shown]
	v_bfe_u32 v22, v2, 29, 1
	v_alignbit_b32 v23, v2, v19, 30
	v_alignbit_b32 v19, v19, v25, 30
	v_alignbit_b32 v18, v25, v18, 30
	v_sub_nc_u32_e32 v24, 0, v22
	v_xor_b32_e32 v23, v23, v24
	v_xor_b32_e32 v19, v19, v24
	;; [unrolled: 1-line block ×3, first 2 shown]
	v_lshrrev_b32_e32 v24, 29, v2
	v_lshrrev_b32_e32 v2, 30, v2
	v_ffbh_u32_e32 v26, v23
	v_min_u32_e32 v26, 32, v26
	v_sub_nc_u32_e32 v25, 31, v26
	v_lshlrev_b32_e32 v27, 23, v26
	v_alignbit_b32 v23, v23, v19, v25
	v_alignbit_b32 v18, v19, v18, v25
	v_lshlrev_b32_e32 v19, 31, v24
	v_alignbit_b32 v24, v23, v18, 9
	v_or_b32_e32 v25, 0.5, v19
	v_lshrrev_b32_e32 v23, 9, v23
	v_or_b32_e32 v19, 0x33000000, v19
	v_ffbh_u32_e32 v28, v24
	v_sub_nc_u32_e32 v25, v25, v27
	v_min_u32_e32 v27, 32, v28
	v_or_b32_e32 v23, v23, v25
	v_not_b32_e32 v25, v27
	v_mul_f32_e32 v28, 0x3fc90fda, v23
	v_add_lshl_u32 v26, v27, v26, 23
	v_alignbit_b32 v18, v24, v18, v25
	v_fma_f32 v24, 0x3fc90fda, v23, -v28
	v_sub_nc_u32_e32 v19, v19, v26
	v_lshrrev_b32_e32 v18, 9, v18
	v_fmac_f32_e32 v24, 0x33a22168, v23
	v_or_b32_e32 v18, v19, v18
	v_add_nc_u32_e32 v19, v22, v2
	v_fmac_f32_e32 v24, 0x3fc90fda, v18
	v_add_f32_e32 v18, v28, v24
.LBB3_20:                               ;   in Loop: Header=BB3_2 Depth=1
	s_or_saveexec_b32 s7, s34
	v_mul_f32_e64 v2, 0x3f22f983, |v15|
	v_rndne_f32_e32 v23, v2
	s_xor_b32 exec_lo, exec_lo, s7
; %bb.21:                               ;   in Loop: Header=BB3_2 Depth=1
	v_fma_f32 v18, 0xbfc90fda, v23, |v15|
	v_cvt_i32_f32_e32 v19, v23
	v_fmac_f32_e32 v18, 0xb3a22168, v23
	v_fmac_f32_e32 v18, 0xa7c234c4, v23
; %bb.22:                               ;   in Loop: Header=BB3_2 Depth=1
	s_or_b32 exec_lo, exec_lo, s7
                                        ; implicit-def: $vgpr22
                                        ; implicit-def: $vgpr2
	s_and_saveexec_b32 s7, s33
	s_xor_b32 s33, exec_lo, s7
	s_cbranch_execz .LBB3_24
; %bb.23:                               ;   in Loop: Header=BB3_2 Depth=1
	v_mad_u64_u32 v[22:23], null, 0xfe5163ab, v20, 0
	v_cmp_lt_u32_e32 vcc_lo, 63, v21
	v_cndmask_b32_e64 v28, 0, 0xffffffc0, vcc_lo
	v_mov_b32_e32 v2, v23
	v_add_nc_u32_e32 v21, v28, v21
	v_mad_u64_u32 v[23:24], null, 0x3c439041, v20, v[2:3]
	v_cmp_lt_u32_e64 s7, 31, v21
	v_mov_b32_e32 v2, v24
	v_cndmask_b32_e64 v29, 0, 0xffffffe0, s7
	v_mad_u64_u32 v[24:25], null, 0xdb629599, v20, v[2:3]
	v_mov_b32_e32 v2, v25
	v_cndmask_b32_e32 v22, v24, v22, vcc_lo
	v_mad_u64_u32 v[25:26], null, 0xf534ddc0, v20, v[2:3]
	v_mov_b32_e32 v2, v26
	v_cndmask_b32_e32 v23, v25, v23, vcc_lo
	v_mad_u64_u32 v[26:27], null, 0xfc2757d1, v20, v[2:3]
	v_mov_b32_e32 v2, v27
	v_mad_u64_u32 v[27:28], null, 0x4e441529, v20, v[2:3]
	v_mov_b32_e32 v2, v28
	v_add_nc_u32_e32 v28, v29, v21
	v_cndmask_b32_e32 v29, v27, v25, vcc_lo
	v_mad_u64_u32 v[20:21], null, 0xa2f9836e, v20, v[2:3]
	v_cmp_lt_u32_e64 s8, 31, v28
	v_cndmask_b32_e64 v2, 0, 0xffffffe0, s8
	v_cndmask_b32_e32 v20, v20, v26, vcc_lo
	v_cndmask_b32_e32 v21, v21, v27, vcc_lo
	;; [unrolled: 1-line block ×3, first 2 shown]
	v_add_nc_u32_e32 v2, v2, v28
	v_cndmask_b32_e64 v25, v20, v29, s7
	v_cndmask_b32_e64 v20, v21, v20, s7
	;; [unrolled: 1-line block ×4, first 2 shown]
	v_sub_nc_u32_e32 v27, 32, v2
	v_cmp_eq_u32_e32 vcc_lo, 0, v2
	v_cndmask_b32_e64 v20, v20, v25, s8
	v_cndmask_b32_e64 v25, v25, v21, s8
	;; [unrolled: 1-line block ×3, first 2 shown]
	v_alignbit_b32 v28, v20, v25, v27
	v_alignbit_b32 v24, v25, v21, v27
	v_cndmask_b32_e32 v2, v28, v20, vcc_lo
	v_cndmask_b32_e64 v20, v23, v22, s7
	v_cndmask_b32_e32 v22, v24, v25, vcc_lo
	v_bfe_u32 v23, v2, 29, 1
	v_cndmask_b32_e64 v20, v26, v20, s8
	v_alignbit_b32 v24, v2, v22, 30
	v_sub_nc_u32_e32 v25, 0, v23
	v_alignbit_b32 v26, v21, v20, v27
	v_xor_b32_e32 v24, v24, v25
	v_cndmask_b32_e32 v21, v26, v21, vcc_lo
	v_ffbh_u32_e32 v26, v24
	v_alignbit_b32 v22, v22, v21, 30
	v_alignbit_b32 v20, v21, v20, 30
	v_min_u32_e32 v26, 32, v26
	v_xor_b32_e32 v21, v22, v25
	v_xor_b32_e32 v20, v20, v25
	v_lshrrev_b32_e32 v25, 29, v2
	v_sub_nc_u32_e32 v22, 31, v26
	v_lshlrev_b32_e32 v27, 23, v26
	v_alignbit_b32 v24, v24, v21, v22
	v_alignbit_b32 v20, v21, v20, v22
	v_lshlrev_b32_e32 v21, 31, v25
	v_alignbit_b32 v22, v24, v20, 9
	v_or_b32_e32 v25, 0.5, v21
	v_lshrrev_b32_e32 v24, 9, v24
	v_or_b32_e32 v21, 0x33000000, v21
	v_ffbh_u32_e32 v28, v22
	v_sub_nc_u32_e32 v25, v25, v27
	v_min_u32_e32 v27, 32, v28
	v_or_b32_e32 v24, v24, v25
	v_not_b32_e32 v25, v27
	v_mul_f32_e32 v28, 0x3fc90fda, v24
	v_add_lshl_u32 v26, v27, v26, 23
	v_alignbit_b32 v20, v22, v20, v25
	v_fma_f32 v22, 0x3fc90fda, v24, -v28
	v_sub_nc_u32_e32 v21, v21, v26
	v_lshrrev_b32_e32 v20, 9, v20
	v_fmac_f32_e32 v22, 0x33a22168, v24
	v_or_b32_e32 v20, v21, v20
	v_fmac_f32_e32 v22, 0x3fc90fda, v20
	v_lshrrev_b32_e32 v20, 30, v2
	v_add_f32_e32 v2, v28, v22
	v_add_nc_u32_e32 v22, v23, v20
                                        ; implicit-def: $vgpr23
	s_andn2_saveexec_b32 s7, s33
	s_cbranch_execz .LBB3_1
	s_branch .LBB3_25
.LBB3_24:                               ;   in Loop: Header=BB3_2 Depth=1
	s_andn2_saveexec_b32 s7, s33
	s_cbranch_execz .LBB3_1
.LBB3_25:                               ;   in Loop: Header=BB3_2 Depth=1
	v_fma_f32 v2, 0xbfc90fda, v23, |v15|
	v_cvt_i32_f32_e32 v22, v23
	v_fmac_f32_e32 v2, 0xb3a22168, v23
	v_fmac_f32_e32 v2, 0xa7c234c4, v23
	s_branch .LBB3_1
.LBB3_26:
	buffer_load_dword v0, off, s[0:3], 0 offset:64
	v_mov_b32_e32 v113, 0
	s_mov_b32 s21, 0
	s_mov_b32 s20, s21
	s_waitcnt vmcnt(0)
	buffer_store_dword v0, off, s[0:3], 0 offset:416 ; 4-byte Folded Spill
	buffer_load_dword v0, off, s[0:3], 0 offset:68
	s_waitcnt vmcnt(0)
	buffer_store_dword v0, off, s[0:3], 0 offset:420 ; 4-byte Folded Spill
	buffer_load_dword v0, off, s[0:3], 0 offset:72
	;; [unrolled: 3-line block ×19, first 2 shown]
	s_waitcnt vmcnt(0)
	buffer_store_dword v0, off, s[0:3], 0 offset:492 ; 4-byte Folded Spill
	s_clause 0x3e
	buffer_load_dword v29, off, s[0:3], 0 offset:144
	buffer_load_dword v30, off, s[0:3], 0 offset:148
	;; [unrolled: 1-line block ×63, first 2 shown]
	s_clause 0x14
	buffer_load_dword v100, off, s[0:3], 0 offset:412
	buffer_load_dword v101, off, s[0:3], 0 offset:400
	;; [unrolled: 1-line block ×12, first 2 shown]
	buffer_load_dword v84, off, s[0:3], 0
	buffer_load_dword v109, off, s[0:3], 0 offset:48
	buffer_load_dword v110, off, s[0:3], 0 offset:52
	buffer_load_dword v111, off, s[0:3], 0 offset:56
	buffer_load_dword v112, off, s[0:3], 0 offset:60
	buffer_load_dword v52, off, s[0:3], 0 offset:28
	buffer_load_dword v60, off, s[0:3], 0 offset:24
	buffer_load_dword v67, off, s[0:3], 0 offset:20
	buffer_load_dword v68, off, s[0:3], 0 offset:16
	s_clause 0x1
	s_load_dwordx2 s[8:9], s[4:5], 0x0
	s_load_dwordx4 s[16:19], s[4:5], 0x48
	s_waitcnt lgkmcnt(0)
	s_max_i32 s24, s9, 1
	s_max_i32 s25, s8, 1
	s_add_u32 s12, s12, 8
	s_addc_u32 s13, s13, 0
.LBB3_27:                               ; =>This Loop Header: Depth=1
                                        ;     Child Loop BB3_28 Depth 2
	s_lshl_b64 s[4:5], s[20:21], 4
	s_mov_b32 s26, s24
	s_add_u32 s4, s14, s4
	s_addc_u32 s5, s15, s5
	s_mov_b64 s[22:23], s[12:13]
	global_load_dwordx4 v[0:3], v113, s[4:5]
	s_clause 0x1
	buffer_load_dword v5, off, s[0:3], 0 offset:416
	buffer_load_dword v6, off, s[0:3], 0 offset:428
	s_waitcnt vmcnt(2)
	v_fma_f32 v114, v0, v105, v108
	s_waitcnt vmcnt(0)
	v_fma_f32 v116, v0, v5, v6
	buffer_load_dword v5, off, s[0:3], 0 offset:420 ; 4-byte Folded Reload
	v_fma_f32 v115, v0, v109, v112
	v_fma_f32 v122, v0, v34, v33
	;; [unrolled: 1-line block ×17, first 2 shown]
	v_ashrrev_i32_e32 v4, 31, v3
	v_fmac_f32_e32 v114, v1, v106
	v_fmac_f32_e32 v115, v1, v110
	;; [unrolled: 1-line block ×36, first 2 shown]
	s_waitcnt vmcnt(0)
	v_fmac_f32_e32 v116, v1, v5
	s_clause 0x1
	buffer_load_dword v5, off, s[0:3], 0 offset:432
	buffer_load_dword v6, off, s[0:3], 0 offset:444
	s_waitcnt vmcnt(0)
	v_fma_f32 v117, v0, v5, v6
	buffer_load_dword v5, off, s[0:3], 0 offset:436 ; 4-byte Folded Reload
	s_waitcnt vmcnt(0)
	v_fmac_f32_e32 v117, v1, v5
	s_clause 0x1
	buffer_load_dword v5, off, s[0:3], 0 offset:448
	buffer_load_dword v6, off, s[0:3], 0 offset:452
	s_waitcnt vmcnt(0)
	v_fma_f32 v118, v0, v6, v5
	buffer_load_dword v5, off, s[0:3], 0 offset:456 ; 4-byte Folded Reload
	;; [unrolled: 8-line block ×4, first 2 shown]
	s_waitcnt vmcnt(0)
	v_fmac_f32_e32 v120, v1, v5
	buffer_load_dword v5, off, s[0:3], 0 offset:492 ; 4-byte Folded Reload
	v_fmac_f32_e32 v120, v2, v32
	s_waitcnt vmcnt(0)
	v_fma_f32 v121, v0, v29, v5
	buffer_load_dword v0, off, s[0:3], 0 offset:424 ; 4-byte Folded Reload
	v_fmac_f32_e32 v121, v1, v30
	v_fmac_f32_e32 v121, v2, v31
	s_waitcnt vmcnt(0)
	v_fmac_f32_e32 v116, v2, v0
	buffer_load_dword v0, off, s[0:3], 0 offset:440 ; 4-byte Folded Reload
	s_waitcnt vmcnt(0)
	v_fmac_f32_e32 v117, v2, v0
	buffer_load_dword v0, off, s[0:3], 0 offset:476 ; 4-byte Folded Reload
	;; [unrolled: 3-line block ×3, first 2 shown]
	s_waitcnt vmcnt(0)
	v_fmac_f32_e32 v119, v2, v0
	v_lshlrev_b64 v[0:1], 4, v[3:4]
	v_add_co_u32 v0, vcc_lo, s18, v0
	v_add_co_ci_u32_e64 v1, null, s19, v1, vcc_lo
	global_load_dwordx4 v[0:3], v[0:1], off
	s_waitcnt vmcnt(0)
	v_cmp_gt_f32_e64 s4, 0, v2
	v_cmp_lt_f32_e64 s5, 0, v2
	v_cmp_eq_u32_e64 s7, 0x46, v0
	v_cmp_eq_u32_e64 s8, 0x45, v0
.LBB3_28:                               ;   Parent Loop BB3_27 Depth=1
                                        ; =>  This Inner Loop Header: Depth=2
	global_load_dwordx4 v[4:7], v113, s[22:23] offset:-8
	v_cndmask_b32_e64 v21, 0xff7fffff, 1.0, s4
	s_waitcnt vmcnt(0)
	v_ashrrev_i32_e32 v19, 31, v7
	v_mov_b32_e32 v18, v7
	v_lshlrev_b64 v[18:19], 4, v[18:19]
	v_add_co_u32 v18, vcc_lo, s18, v18
	v_add_co_ci_u32_e64 v19, null, s19, v19, vcc_lo
	global_load_dwordx4 v[24:27], v[18:19], off
	s_waitcnt vmcnt(0)
	v_add_f32_e32 v23, v1, v25
	v_cmp_lt_f32_e64 s10, 0, v26
	v_div_scale_f32 v0, null, v23, v23, 1.0
	s_and_b32 s10, s10, s4
	v_rcp_f32_e32 v7, v0
	v_fma_f32 v18, -v0, v7, 1.0
	v_fmac_f32_e32 v7, v18, v7
	v_div_scale_f32 v18, vcc_lo, 1.0, v23, 1.0
	v_mul_f32_e32 v19, v18, v7
	v_fma_f32 v20, -v0, v19, v18
	v_fmac_f32_e32 v19, v20, v7
	v_fma_f32 v0, -v0, v19, v18
	v_div_fmas_f32 v0, v0, v7, v19
	v_cmp_eq_u32_e32 vcc_lo, 0x46, v24
	v_cndmask_b32_e64 v7, 1.0, 0x40b00000, s4
	v_div_fixup_f32 v20, v0, v23, 1.0
	s_and_b32 s9, vcc_lo, s7
	v_cmp_eq_u32_e32 vcc_lo, 0x45, v24
	v_cndmask_b32_e64 v18, 2.0, 4.0, s9
	v_cndmask_b32_e64 v19, 0.5, 0x3e800000, s9
	v_cmp_neq_f32_e64 s9, 0, v26
	v_cndmask_b32_e64 v24, v2, -v2, s10
	s_or_b32 s27, vcc_lo, s8
	v_cmp_gt_f32_e32 vcc_lo, 0, v26
	v_cndmask_b32_e32 v7, v21, v7, vcc_lo
	s_and_b32 s28, vcc_lo, s5
	v_cndmask_b32_e64 v0, v26, -v26, s28
	v_div_scale_f32 v21, null, v7, v7, 1.0
	v_add_f32_e32 v0, v0, v24
	v_sub_f32_e32 v24, v114, v4
	v_rcp_f32_e32 v22, v21
	v_fma_f32 v25, -v21, v22, 1.0
	v_fmac_f32_e32 v22, v25, v22
	v_div_scale_f32 v25, vcc_lo, 1.0, v7, 1.0
	v_mul_f32_e32 v26, v25, v22
	v_fma_f32 v28, -v21, v26, v25
	v_fmac_f32_e32 v26, v28, v22
	v_fma_f32 v21, -v21, v26, v25
	v_sub_f32_e32 v25, v115, v5
	v_div_fmas_f32 v21, v21, v22, v26
	v_mul_f32_e32 v25, v25, v25
	v_sub_f32_e32 v26, v116, v6
	v_mul_f32_e32 v22, v3, v27
	v_div_fixup_f32 v21, v21, v7, 1.0
	v_fmac_f32_e32 v25, v24, v24
	v_fmac_f32_e32 v25, v26, v26
	v_cmp_gt_f32_e32 vcc_lo, 0xf800000, v25
	v_mul_f32_e32 v24, 0x4f800000, v25
	v_cndmask_b32_e32 v24, v25, v24, vcc_lo
	v_sqrt_f32_e32 v25, v24
	v_add_nc_u32_e32 v26, -1, v25
	v_fma_f32 v27, -v26, v25, v24
	v_cmp_ge_f32_e64 s10, 0, v27
	v_add_nc_u32_e32 v27, 1, v25
	v_cndmask_b32_e64 v26, v25, v26, s10
	v_fma_f32 v25, -v27, v25, v24
	v_cmp_lt_f32_e64 s10, 0, v25
	v_cndmask_b32_e64 v25, v26, v27, s10
	v_mul_f32_e32 v26, 0x37800000, v25
	v_cndmask_b32_e32 v25, v25, v26, vcc_lo
	v_cmp_class_f32_e64 vcc_lo, v24, 0x260
	v_cndmask_b32_e32 v24, v25, v24, vcc_lo
	v_sub_f32_e32 v25, v24, v23
	v_fma_f32 v24, -v20, v24, 1.0
	v_cmp_gt_f32_e32 vcc_lo, 0, v25
	v_cmp_lt_f32_e64 s10, v25, v18
	v_cndmask_b32_e64 v26, 0, 0x42980000, vcc_lo
	v_fmac_f32_e32 v84, v24, v26
	v_fma_f32 v24, -v19, v25, 1.0
	v_cndmask_b32_e64 v26, 0, 1.0, s10
	v_cmp_lt_f32_e64 s10, v25, v7
	v_cndmask_b32_e64 v24, v24, 1.0, vcc_lo
	s_and_b32 s10, s9, s10
	v_mul_f32_e32 v24, v26, v24
	v_sub_f32_e32 v26, v119, v6
	v_mul_f32_e32 v24, v22, v24
	v_cndmask_b32_e64 v24, v24, -|v24|, s27
	v_fmac_f32_e32 v84, 0x42340000, v24
	v_fma_f32 v24, -v21, v25, 1.0
	v_cndmask_b32_e64 v25, 0, 1.0, s10
	v_cndmask_b32_e64 v24, v24, 1.0, vcc_lo
	v_mul_f32_e32 v25, v0, v25
	v_fmac_f32_e32 v84, v24, v25
	v_sub_f32_e32 v25, v118, v5
	v_sub_f32_e32 v24, v117, v4
	v_mul_f32_e32 v25, v25, v25
	v_fmac_f32_e32 v25, v24, v24
	v_fmac_f32_e32 v25, v26, v26
	v_cmp_gt_f32_e32 vcc_lo, 0xf800000, v25
	v_mul_f32_e32 v24, 0x4f800000, v25
	v_cndmask_b32_e32 v24, v25, v24, vcc_lo
	v_sqrt_f32_e32 v25, v24
	v_add_nc_u32_e32 v26, -1, v25
	v_fma_f32 v27, -v26, v25, v24
	v_cmp_ge_f32_e64 s10, 0, v27
	v_add_nc_u32_e32 v27, 1, v25
	v_cndmask_b32_e64 v26, v25, v26, s10
	v_fma_f32 v25, -v27, v25, v24
	v_cmp_lt_f32_e64 s10, 0, v25
	v_cndmask_b32_e64 v25, v26, v27, s10
	v_mul_f32_e32 v26, 0x37800000, v25
	v_cndmask_b32_e32 v25, v25, v26, vcc_lo
	v_cmp_class_f32_e64 vcc_lo, v24, 0x260
	v_cndmask_b32_e32 v24, v25, v24, vcc_lo
	v_sub_f32_e32 v25, v24, v23
	v_fma_f32 v24, -v20, v24, 1.0
	v_cmp_gt_f32_e32 vcc_lo, 0, v25
	v_cmp_lt_f32_e64 s10, v25, v18
	v_cndmask_b32_e64 v26, 0, 0x42980000, vcc_lo
	v_fmac_f32_e32 v81, v24, v26
	v_fma_f32 v24, -v19, v25, 1.0
	v_cndmask_b32_e64 v26, 0, 1.0, s10
	v_cmp_lt_f32_e64 s10, v25, v7
	v_cndmask_b32_e64 v24, v24, 1.0, vcc_lo
	s_and_b32 s10, s9, s10
	v_mul_f32_e32 v24, v26, v24
	v_sub_f32_e32 v26, v122, v6
	v_mul_f32_e32 v24, v22, v24
	v_cndmask_b32_e64 v24, v24, -|v24|, s27
	v_fmac_f32_e32 v81, 0x42340000, v24
	v_fma_f32 v24, -v21, v25, 1.0
	v_cndmask_b32_e64 v25, 0, 1.0, s10
	v_cndmask_b32_e64 v24, v24, 1.0, vcc_lo
	v_mul_f32_e32 v25, v0, v25
	v_fmac_f32_e32 v81, v24, v25
	v_sub_f32_e32 v25, v121, v5
	v_sub_f32_e32 v24, v120, v4
	v_mul_f32_e32 v25, v25, v25
	;; [unrolled: 42-line block ×5, first 2 shown]
	v_fmac_f32_e32 v25, v24, v24
	v_fmac_f32_e32 v25, v26, v26
	v_cmp_gt_f32_e32 vcc_lo, 0xf800000, v25
	v_mul_f32_e32 v24, 0x4f800000, v25
	v_cndmask_b32_e32 v24, v25, v24, vcc_lo
	v_sqrt_f32_e32 v25, v24
	v_add_nc_u32_e32 v26, -1, v25
	v_fma_f32 v27, -v26, v25, v24
	v_cmp_ge_f32_e64 s10, 0, v27
	v_add_nc_u32_e32 v27, 1, v25
	v_cndmask_b32_e64 v26, v25, v26, s10
	v_fma_f32 v25, -v27, v25, v24
	v_cmp_lt_f32_e64 s10, 0, v25
	v_cndmask_b32_e64 v25, v26, v27, s10
	v_mul_f32_e32 v26, 0x37800000, v25
	v_cndmask_b32_e32 v25, v25, v26, vcc_lo
	v_cmp_class_f32_e64 vcc_lo, v24, 0x260
	v_cndmask_b32_e32 v24, v25, v24, vcc_lo
	v_sub_f32_e32 v25, v24, v23
	v_fma_f32 v24, -v20, v24, 1.0
	v_cmp_gt_f32_e32 vcc_lo, 0, v25
	v_cmp_lt_f32_e64 s10, v25, v18
	v_cndmask_b32_e64 v26, 0, 0x42980000, vcc_lo
	v_fmac_f32_e32 v67, v24, v26
	v_fma_f32 v24, -v19, v25, 1.0
	v_cndmask_b32_e64 v26, 0, 1.0, s10
	v_cmp_lt_f32_e64 s10, v25, v7
	v_cndmask_b32_e64 v24, v24, 1.0, vcc_lo
	s_and_b32 s10, s9, s10
	v_mul_f32_e32 v24, v26, v24
	v_sub_f32_e32 v26, v14, v6
	v_mul_f32_e32 v24, v22, v24
	v_cndmask_b32_e64 v24, v24, -|v24|, s27
	v_fmac_f32_e32 v67, 0x42340000, v24
	v_fma_f32 v24, -v21, v25, 1.0
	v_cndmask_b32_e64 v25, 0, 1.0, s10
	v_cndmask_b32_e64 v24, v24, 1.0, vcc_lo
	v_mul_f32_e32 v25, v0, v25
	v_fmac_f32_e32 v67, v24, v25
	v_sub_f32_e32 v25, v13, v5
	v_sub_f32_e32 v24, v12, v4
	;; [unrolled: 1-line block ×3, first 2 shown]
	v_mul_f32_e32 v25, v25, v25
	v_mul_f32_e32 v5, v5, v5
	v_fmac_f32_e32 v25, v24, v24
	v_fmac_f32_e32 v25, v26, v26
	v_cmp_gt_f32_e32 vcc_lo, 0xf800000, v25
	v_mul_f32_e32 v24, 0x4f800000, v25
	v_cndmask_b32_e32 v24, v25, v24, vcc_lo
	v_sqrt_f32_e32 v25, v24
	v_add_nc_u32_e32 v26, -1, v25
	v_fma_f32 v27, -v26, v25, v24
	v_cmp_ge_f32_e64 s10, 0, v27
	v_add_nc_u32_e32 v27, 1, v25
	v_cndmask_b32_e64 v26, v25, v26, s10
	v_fma_f32 v25, -v27, v25, v24
	v_cmp_lt_f32_e64 s10, 0, v25
	v_cndmask_b32_e64 v25, v26, v27, s10
	v_mul_f32_e32 v26, 0x37800000, v25
	v_cndmask_b32_e32 v25, v25, v26, vcc_lo
	v_cmp_class_f32_e64 vcc_lo, v24, 0x260
	v_cndmask_b32_e32 v24, v25, v24, vcc_lo
	v_sub_f32_e32 v25, v24, v23
	v_fma_f32 v24, -v20, v24, 1.0
	v_cmp_gt_f32_e32 vcc_lo, 0, v25
	v_cmp_lt_f32_e64 s10, v25, v18
	v_cndmask_b32_e64 v26, 0, 0x42980000, vcc_lo
	v_fmac_f32_e32 v60, v24, v26
	v_fma_f32 v24, -v19, v25, 1.0
	v_cndmask_b32_e64 v26, 0, 1.0, s10
	v_cmp_lt_f32_e64 s10, v25, v7
	v_cndmask_b32_e64 v24, v24, 1.0, vcc_lo
	s_and_b32 s10, s9, s10
	v_mul_f32_e32 v24, v26, v24
	v_mul_f32_e32 v24, v22, v24
	v_cndmask_b32_e64 v24, v24, -|v24|, s27
	v_fmac_f32_e32 v60, 0x42340000, v24
	v_fma_f32 v24, -v21, v25, 1.0
	v_cndmask_b32_e64 v25, 0, 1.0, s10
	v_cndmask_b32_e64 v24, v24, 1.0, vcc_lo
	v_mul_f32_e32 v25, v0, v25
	v_fmac_f32_e32 v60, v24, v25
	v_sub_f32_e32 v24, v15, v4
	v_sub_f32_e32 v4, v17, v6
	v_fmac_f32_e32 v5, v24, v24
	v_fmac_f32_e32 v5, v4, v4
	v_cmp_gt_f32_e32 vcc_lo, 0xf800000, v5
	v_mul_f32_e32 v4, 0x4f800000, v5
	v_cndmask_b32_e32 v4, v5, v4, vcc_lo
	v_sqrt_f32_e32 v5, v4
	v_add_nc_u32_e32 v6, -1, v5
	v_fma_f32 v24, -v6, v5, v4
	v_cmp_ge_f32_e64 s10, 0, v24
	v_add_nc_u32_e32 v24, 1, v5
	v_cndmask_b32_e64 v6, v5, v6, s10
	v_fma_f32 v5, -v24, v5, v4
	v_cmp_lt_f32_e64 s10, 0, v5
	v_cndmask_b32_e64 v5, v6, v24, s10
	v_mul_f32_e32 v6, 0x37800000, v5
	v_cndmask_b32_e32 v5, v5, v6, vcc_lo
	v_cmp_class_f32_e64 vcc_lo, v4, 0x260
	v_cndmask_b32_e32 v4, v5, v4, vcc_lo
	v_sub_f32_e32 v5, v4, v23
	v_fma_f32 v4, -v20, v4, 1.0
	v_cmp_gt_f32_e32 vcc_lo, 0, v5
	v_cmp_lt_f32_e64 s10, v5, v18
	v_cndmask_b32_e64 v6, 0, 0x42980000, vcc_lo
	v_fmac_f32_e32 v52, v4, v6
	v_fma_f32 v4, -v19, v5, 1.0
	v_cndmask_b32_e64 v6, 0, 1.0, s10
	v_cmp_lt_f32_e64 s10, v5, v7
	v_cndmask_b32_e64 v4, v4, 1.0, vcc_lo
	s_and_b32 s9, s9, s10
	s_add_u32 s22, s22, 16
	s_addc_u32 s23, s23, 0
	v_mul_f32_e32 v4, v6, v4
	s_add_i32 s26, s26, -1
	s_cmp_lg_u32 s26, 0
	v_mul_f32_e32 v4, v22, v4
	v_cndmask_b32_e64 v4, v4, -|v4|, s27
	v_fmac_f32_e32 v52, 0x42340000, v4
	v_fma_f32 v4, -v21, v5, 1.0
	v_cndmask_b32_e64 v5, 0, 1.0, s9
	v_cndmask_b32_e64 v4, v4, 1.0, vcc_lo
	v_mul_f32_e32 v0, v0, v5
	v_fmac_f32_e32 v52, v4, v0
	s_cbranch_scc1 .LBB3_28
; %bb.29:                               ;   in Loop: Header=BB3_27 Depth=1
	s_add_i32 s20, s20, 1
	s_cmp_lg_u32 s20, s25
	s_cbranch_scc1 .LBB3_27
; %bb.30:
	buffer_store_dword v84, off, s[0:3], 0
	buffer_store_dword v81, off, s[0:3], 0 offset:4
	buffer_store_dword v70, off, s[0:3], 0 offset:8
	;; [unrolled: 1-line block ×7, first 2 shown]
	s_and_saveexec_b32 s4, s6
	s_cbranch_execz .LBB3_32
; %bb.31:
	s_clause 0x1
	buffer_load_dword v0, off, s[0:3], 0 offset:496
	buffer_load_dword v1, off, s[0:3], 0 offset:500
	v_mov_b32_e32 v15, 0
	v_mul_f32_e32 v8, 0.5, v84
	v_mul_f32_e32 v9, 0.5, v81
	;; [unrolled: 1-line block ×6, first 2 shown]
	s_waitcnt vmcnt(1)
	v_mov_b32_e32 v14, v0
	s_waitcnt vmcnt(0)
	v_lshlrev_b64 v[0:1], 2, v[14:15]
	v_add_nc_u32_e32 v14, s11, v14
	v_lshlrev_b64 v[2:3], 2, v[14:15]
	v_add_nc_u32_e32 v14, s11, v14
	v_add_co_u32 v0, vcc_lo, s16, v0
	v_add_co_ci_u32_e64 v1, null, s17, v1, vcc_lo
	v_lshlrev_b64 v[4:5], 2, v[14:15]
	v_add_nc_u32_e32 v14, s11, v14
	v_add_co_u32 v2, vcc_lo, s16, v2
	v_add_co_ci_u32_e64 v3, null, s17, v3, vcc_lo
	v_add_co_u32 v4, vcc_lo, s16, v4
	v_lshlrev_b64 v[6:7], 2, v[14:15]
	v_add_nc_u32_e32 v14, s11, v14
	v_add_co_ci_u32_e64 v5, null, s17, v5, vcc_lo
	global_store_dword v[0:1], v8, off
	global_store_dword v[2:3], v9, off
	;; [unrolled: 1-line block ×3, first 2 shown]
	v_lshlrev_b64 v[0:1], 2, v[14:15]
	v_add_nc_u32_e32 v14, s11, v14
	v_add_co_u32 v2, vcc_lo, s16, v6
	v_add_co_ci_u32_e64 v3, null, s17, v7, vcc_lo
	v_lshlrev_b64 v[4:5], 2, v[14:15]
	v_add_nc_u32_e32 v14, s11, v14
	v_add_co_u32 v0, vcc_lo, s16, v0
	v_add_co_ci_u32_e64 v1, null, s17, v1, vcc_lo
	v_lshlrev_b64 v[6:7], 2, v[14:15]
	v_add_nc_u32_e32 v14, s11, v14
	v_add_co_u32 v4, vcc_lo, s16, v4
	v_mul_f32_e32 v10, 0.5, v69
	v_add_co_ci_u32_e64 v5, null, s17, v5, vcc_lo
	v_lshlrev_b64 v[8:9], 2, v[14:15]
	v_add_co_u32 v6, vcc_lo, s16, v6
	v_add_co_ci_u32_e64 v7, null, s17, v7, vcc_lo
	v_mul_f32_e32 v14, 0.5, v52
	v_add_co_u32 v8, vcc_lo, s16, v8
	v_add_co_ci_u32_e64 v9, null, s17, v9, vcc_lo
	global_store_dword v[2:3], v10, off
	global_store_dword v[0:1], v11, off
	;; [unrolled: 1-line block ×5, first 2 shown]
.LBB3_32:
	s_endpgm
	.section	.rodata,"a",@progbits
	.p2align	6, 0x0
	.amdhsa_kernel _ZL11fasten_mainILm8EEviiPK4AtomS2_PKfS4_S4_S4_S4_S4_PfPK8FFParamsi
		.amdhsa_group_segment_fixed_size 0
		.amdhsa_private_segment_fixed_size 512
		.amdhsa_kernarg_size 352
		.amdhsa_user_sgpr_count 6
		.amdhsa_user_sgpr_private_segment_buffer 1
		.amdhsa_user_sgpr_dispatch_ptr 0
		.amdhsa_user_sgpr_queue_ptr 0
		.amdhsa_user_sgpr_kernarg_segment_ptr 1
		.amdhsa_user_sgpr_dispatch_id 0
		.amdhsa_user_sgpr_flat_scratch_init 0
		.amdhsa_user_sgpr_private_segment_size 0
		.amdhsa_wavefront_size32 1
		.amdhsa_uses_dynamic_stack 0
		.amdhsa_system_sgpr_private_segment_wavefront_offset 1
		.amdhsa_system_sgpr_workgroup_id_x 1
		.amdhsa_system_sgpr_workgroup_id_y 0
		.amdhsa_system_sgpr_workgroup_id_z 0
		.amdhsa_system_sgpr_workgroup_info 0
		.amdhsa_system_vgpr_workitem_id 0
		.amdhsa_next_free_vgpr 128
		.amdhsa_next_free_sgpr 35
		.amdhsa_reserve_vcc 1
		.amdhsa_reserve_flat_scratch 0
		.amdhsa_float_round_mode_32 0
		.amdhsa_float_round_mode_16_64 0
		.amdhsa_float_denorm_mode_32 3
		.amdhsa_float_denorm_mode_16_64 3
		.amdhsa_dx10_clamp 1
		.amdhsa_ieee_mode 1
		.amdhsa_fp16_overflow 0
		.amdhsa_workgroup_processor_mode 1
		.amdhsa_memory_ordered 1
		.amdhsa_forward_progress 1
		.amdhsa_shared_vgpr_count 0
		.amdhsa_exception_fp_ieee_invalid_op 0
		.amdhsa_exception_fp_denorm_src 0
		.amdhsa_exception_fp_ieee_div_zero 0
		.amdhsa_exception_fp_ieee_overflow 0
		.amdhsa_exception_fp_ieee_underflow 0
		.amdhsa_exception_fp_ieee_inexact 0
		.amdhsa_exception_int_div_zero 0
	.end_amdhsa_kernel
	.section	.text._ZL11fasten_mainILm8EEviiPK4AtomS2_PKfS4_S4_S4_S4_S4_PfPK8FFParamsi,"axG",@progbits,_ZL11fasten_mainILm8EEviiPK4AtomS2_PKfS4_S4_S4_S4_S4_PfPK8FFParamsi,comdat
.Lfunc_end3:
	.size	_ZL11fasten_mainILm8EEviiPK4AtomS2_PKfS4_S4_S4_S4_S4_PfPK8FFParamsi, .Lfunc_end3-_ZL11fasten_mainILm8EEviiPK4AtomS2_PKfS4_S4_S4_S4_S4_PfPK8FFParamsi
                                        ; -- End function
	.set _ZL11fasten_mainILm8EEviiPK4AtomS2_PKfS4_S4_S4_S4_S4_PfPK8FFParamsi.num_vgpr, 128
	.set _ZL11fasten_mainILm8EEviiPK4AtomS2_PKfS4_S4_S4_S4_S4_PfPK8FFParamsi.num_agpr, 0
	.set _ZL11fasten_mainILm8EEviiPK4AtomS2_PKfS4_S4_S4_S4_S4_PfPK8FFParamsi.numbered_sgpr, 35
	.set _ZL11fasten_mainILm8EEviiPK4AtomS2_PKfS4_S4_S4_S4_S4_PfPK8FFParamsi.num_named_barrier, 0
	.set _ZL11fasten_mainILm8EEviiPK4AtomS2_PKfS4_S4_S4_S4_S4_PfPK8FFParamsi.private_seg_size, 512
	.set _ZL11fasten_mainILm8EEviiPK4AtomS2_PKfS4_S4_S4_S4_S4_PfPK8FFParamsi.uses_vcc, 1
	.set _ZL11fasten_mainILm8EEviiPK4AtomS2_PKfS4_S4_S4_S4_S4_PfPK8FFParamsi.uses_flat_scratch, 0
	.set _ZL11fasten_mainILm8EEviiPK4AtomS2_PKfS4_S4_S4_S4_S4_PfPK8FFParamsi.has_dyn_sized_stack, 0
	.set _ZL11fasten_mainILm8EEviiPK4AtomS2_PKfS4_S4_S4_S4_S4_PfPK8FFParamsi.has_recursion, 0
	.set _ZL11fasten_mainILm8EEviiPK4AtomS2_PKfS4_S4_S4_S4_S4_PfPK8FFParamsi.has_indirect_call, 0
	.section	.AMDGPU.csdata,"",@progbits
; Kernel info:
; codeLenInByte = 9696
; TotalNumSgprs: 37
; NumVgprs: 128
; ScratchSize: 512
; MemoryBound: 0
; FloatMode: 240
; IeeeMode: 1
; LDSByteSize: 0 bytes/workgroup (compile time only)
; SGPRBlocks: 0
; VGPRBlocks: 15
; NumSGPRsForWavesPerEU: 37
; NumVGPRsForWavesPerEU: 128
; Occupancy: 8
; WaveLimiterHint : 1
; COMPUTE_PGM_RSRC2:SCRATCH_EN: 1
; COMPUTE_PGM_RSRC2:USER_SGPR: 6
; COMPUTE_PGM_RSRC2:TRAP_HANDLER: 0
; COMPUTE_PGM_RSRC2:TGID_X_EN: 1
; COMPUTE_PGM_RSRC2:TGID_Y_EN: 0
; COMPUTE_PGM_RSRC2:TGID_Z_EN: 0
; COMPUTE_PGM_RSRC2:TIDIG_COMP_CNT: 0
	.section	.text._ZL11fasten_mainILm16EEviiPK4AtomS2_PKfS4_S4_S4_S4_S4_PfPK8FFParamsi,"axG",@progbits,_ZL11fasten_mainILm16EEviiPK4AtomS2_PKfS4_S4_S4_S4_S4_PfPK8FFParamsi,comdat
	.globl	_ZL11fasten_mainILm16EEviiPK4AtomS2_PKfS4_S4_S4_S4_S4_PfPK8FFParamsi ; -- Begin function _ZL11fasten_mainILm16EEviiPK4AtomS2_PKfS4_S4_S4_S4_S4_PfPK8FFParamsi
	.p2align	8
	.type	_ZL11fasten_mainILm16EEviiPK4AtomS2_PKfS4_S4_S4_S4_S4_PfPK8FFParamsi,@function
_ZL11fasten_mainILm16EEviiPK4AtomS2_PKfS4_S4_S4_S4_S4_PfPK8FFParamsi: ; @_ZL11fasten_mainILm16EEviiPK4AtomS2_PKfS4_S4_S4_S4_S4_PfPK8FFParamsi
; %bb.0:
	s_add_u32 s0, s0, s7
	s_clause 0x1
	s_load_dword s7, s[4:5], 0x6c
	s_load_dword s8, s[4:5], 0x58
	s_addc_u32 s1, s1, 0
	s_load_dwordx16 s[12:27], s[4:5], 0x8
	v_mov_b32_e32 v3, 0
	s_mov_b32 s9, 0
	s_mov_b32 s28, 64
	;; [unrolled: 1-line block ×5, first 2 shown]
	s_waitcnt lgkmcnt(0)
	s_and_b32 s11, s7, 0xffff
	s_add_i32 s7, s8, -16
	s_mul_i32 s6, s6, s11
	s_lshl_b32 s10, s11, 2
	v_lshl_add_u32 v1, s6, 4, v0
	v_mov_b32_e32 v0, v1
	v_cmp_gt_i32_e64 s6, s8, v1
	buffer_store_dword v0, off, s[0:3], 0 offset:1424 ; 4-byte Folded Spill
	buffer_store_dword v1, off, s[0:3], 0 offset:1428 ; 4-byte Folded Spill
	v_cndmask_b32_e64 v0, s7, v1, s6
	v_ashrrev_i32_e32 v1, 31, v0
	v_lshlrev_b64 v[0:1], 2, v[0:1]
	s_branch .LBB4_2
.LBB4_1:                                ;   in Loop: Header=BB4_2 Depth=1
	s_or_b32 exec_lo, exec_lo, s7
	v_add_co_u32 v20, vcc_lo, s22, v0
	v_add_co_ci_u32_e64 v21, null, s23, v1, vcc_lo
	v_add_co_u32 v23, vcc_lo, s24, v0
	v_add_co_ci_u32_e64 v24, null, s25, v1, vcc_lo
	;; [unrolled: 2-line block ×3, first 2 shown]
	global_load_dword v20, v[20:21], off
	global_load_dword v21, v[23:24], off
	;; [unrolled: 1-line block ×3, first 2 shown]
	v_mul_f32_e32 v24, v18, v18
	v_mul_f32_e32 v26, v14, v14
	;; [unrolled: 1-line block ×3, first 2 shown]
	v_and_b32_e32 v25, 1, v19
	v_mul_f32_e32 v30, v8, v8
	v_fmaak_f32 v38, s30, v24, 0x3c0881c4
	v_fmaak_f32 v39, s31, v24, 0xbab64f3b
	;; [unrolled: 1-line block ×10, first 2 shown]
	v_mul_f32_e32 v38, v24, v38
	v_fmaak_f32 v39, v24, v39, 0xbf000004
	v_and_b32_e32 v27, 1, v16
	v_mul_f32_e32 v32, v6, v6
	v_fmaak_f32 v44, s30, v30, 0x3c0881c4
	v_fmaak_f32 v45, s31, v30, 0xbab64f3b
	;; [unrolled: 1-line block ×4, first 2 shown]
	v_mul_f32_e32 v40, v26, v40
	v_fmaak_f32 v41, v26, v41, 0xbf000004
	v_fmac_f32_e32 v18, v18, v38
	v_fma_f32 v24, v24, v39, 1.0
	v_cmp_eq_u32_e32 vcc_lo, 0, v25
	v_and_b32_e32 v29, 1, v13
	v_mul_f32_e32 v34, v2, v2
	v_fmaak_f32 v46, s30, v32, 0x3c0881c4
	v_fmaak_f32 v47, s31, v32, 0xbab64f3b
	v_fmaak_f32 v44, v30, v44, 0xbe2aaa9d
	v_fmaak_f32 v45, v30, v45, 0x3d2aabf7
	v_mul_f32_e32 v42, v28, v42
	v_fmaak_f32 v43, v28, v43, 0xbf000004
	v_fmac_f32_e32 v14, v14, v40
	v_fma_f32 v26, v26, v41, 1.0
	v_cndmask_b32_e32 v18, v24, v18, vcc_lo
	v_cmp_eq_u32_e32 vcc_lo, 0, v27
	v_and_b32_e32 v31, 1, v10
	v_fmaak_f32 v48, s30, v34, 0x3c0881c4
	v_fmaak_f32 v49, s31, v34, 0xbab64f3b
	;; [unrolled: 1-line block ×4, first 2 shown]
	v_mul_f32_e32 v44, v30, v44
	v_fmaak_f32 v45, v30, v45, 0xbf000004
	v_fmac_f32_e32 v12, v12, v42
	v_fma_f32 v28, v28, v43, 1.0
	v_cndmask_b32_e64 v14, -v14, v26, vcc_lo
	v_cmp_eq_u32_e32 vcc_lo, 0, v29
	v_and_b32_e32 v33, 1, v7
	v_fmaak_f32 v48, v34, v48, 0xbe2aaa9d
	v_fmaak_f32 v49, v34, v49, 0x3d2aabf7
	v_mul_f32_e32 v46, v32, v46
	v_fmaak_f32 v47, v32, v47, 0xbf000004
	v_fmac_f32_e32 v8, v8, v44
	v_fma_f32 v30, v30, v45, 1.0
	v_cndmask_b32_e32 v12, v28, v12, vcc_lo
	v_cmp_eq_u32_e32 vcc_lo, 0, v31
	v_and_b32_e32 v35, 1, v22
	v_mul_f32_e32 v48, v34, v48
	v_fmaak_f32 v49, v34, v49, 0xbf000004
	v_fmac_f32_e32 v6, v6, v46
	v_fma_f32 v32, v32, v47, 1.0
	v_cndmask_b32_e64 v8, -v8, v30, vcc_lo
	v_cmp_eq_u32_e32 vcc_lo, 0, v33
	v_lshlrev_b32_e32 v19, 30, v19
	v_lshlrev_b32_e32 v13, 30, v13
	;; [unrolled: 1-line block ×5, first 2 shown]
	v_fmac_f32_e32 v2, v2, v48
	v_fma_f32 v34, v34, v49, 1.0
	v_cndmask_b32_e32 v6, v32, v6, vcc_lo
	v_cmp_eq_u32_e32 vcc_lo, 0, v35
	v_lshlrev_b32_e32 v16, 30, v16
	v_xor_b32_e32 v17, v17, v15
	v_xor_b32_e32 v11, v11, v9
	;; [unrolled: 1-line block ×3, first 2 shown]
	v_and_b32_e32 v19, 0x80000000, v19
	v_and_b32_e32 v13, 0x80000000, v13
	;; [unrolled: 1-line block ×5, first 2 shown]
	v_cndmask_b32_e64 v2, -v2, v34, vcc_lo
	v_and_b32_e32 v16, 0x80000000, v16
	v_xor3_b32 v17, v17, v19, v18
	v_cmp_class_f32_e64 vcc_lo, v9, 0x1f8
	v_xor3_b32 v9, v11, v13, v12
	v_xor_b32_e32 v8, v10, v8
	v_cmp_class_f32_e64 s7, v4, 0x1f8
	v_xor3_b32 v4, v5, v7, v6
	v_cmp_class_f32_e64 s8, v15, 0x1f8
	v_xor_b32_e32 v2, v22, v2
	v_xor_b32_e32 v14, v16, v14
	v_cndmask_b32_e32 v7, 0x7fc00000, v9, vcc_lo
	v_cndmask_b32_e64 v8, 0x7fc00000, v8, s7
	v_cndmask_b32_e64 v5, 0x7fc00000, v17, s8
	;; [unrolled: 1-line block ×3, first 2 shown]
	v_mov_b32_e32 v37, s9
	s_add_i32 s9, s9, 4
	s_add_u32 s16, s16, s10
	s_addc_u32 s17, s17, 0
	v_cndmask_b32_e64 v2, 0x7fc00000, v2, s8
	s_add_u32 s18, s18, s10
	v_cndmask_b32_e32 v6, 0x7fc00000, v14, vcc_lo
	s_addc_u32 s19, s19, 0
	v_mul_f32_e32 v10, v4, v7
	v_mul_f32_e32 v11, v8, v5
	;; [unrolled: 1-line block ×3, first 2 shown]
	s_add_u32 s20, s20, s10
	s_addc_u32 s21, s21, 0
	s_add_u32 s22, s22, s10
	v_mul_f32_e32 v14, v8, v2
	v_mov_b32_e32 v36, s28
	s_addc_u32 s23, s23, 0
	v_mul_f32_e32 v9, v6, v2
	v_mul_f32_e32 v15, v4, v2
	s_add_u32 s24, s24, s10
	v_mul_f32_e32 v13, v6, v5
	v_mul_f32_e32 v16, v4, v6
	;; [unrolled: 1-line block ×3, first 2 shown]
	v_fma_f32 v8, v10, v2, -v11
	v_mul_f32_e32 v2, v12, v2
	s_addc_u32 s25, s25, 0
	v_xor_b32_e32 v7, 0x80000000, v7
	s_add_u32 s26, s26, s10
	s_addc_u32 s27, s27, 0
	s_add_i32 s28, s28, 48
	v_fmac_f32_e32 v14, v10, v5
	s_cmp_lg_u32 s9, 64
	buffer_store_dword v9, v36, s[0:3], 0 offen
	v_fma_f32 v9, v12, v5, -v15
	v_fmac_f32_e32 v2, v4, v5
	buffer_store_dword v13, v36, s[0:3], 0 offen offset:16
	buffer_store_dword v7, v36, s[0:3], 0 offen offset:32
	buffer_store_dword v16, v36, s[0:3], 0 offen offset:36
	buffer_store_dword v6, v36, s[0:3], 0 offen offset:40
	buffer_store_dword v8, v36, s[0:3], 0 offen offset:4
	buffer_store_dword v14, v36, s[0:3], 0 offen offset:20
	buffer_store_dword v9, v36, s[0:3], 0 offen offset:24
	buffer_store_dword v2, v36, s[0:3], 0 offen offset:8
	s_waitcnt vmcnt(2)
	buffer_store_dword v20, v36, s[0:3], 0 offen offset:12
	s_waitcnt vmcnt(1)
	buffer_store_dword v21, v36, s[0:3], 0 offen offset:28
	s_waitcnt vmcnt(0)
	buffer_store_dword v23, v36, s[0:3], 0 offen offset:44
	buffer_store_dword v3, v37, s[0:3], 0 offen
	s_cbranch_scc0 .LBB4_26
.LBB4_2:                                ; =>This Inner Loop Header: Depth=1
	v_add_co_u32 v4, vcc_lo, s16, v0
	v_add_co_ci_u32_e64 v5, null, s17, v1, vcc_lo
                                        ; implicit-def: $vgpr7
                                        ; implicit-def: $vgpr6
	global_load_dword v4, v[4:5], off
	s_waitcnt vmcnt(0)
	v_and_b32_e32 v5, 0x7fffffff, v4
	v_cmp_ngt_f32_e64 s33, 0x48000000, |v4|
	v_lshrrev_b32_e32 v2, 23, v5
	v_and_or_b32 v9, v5, s29, 0x800000
	v_add_nc_u32_e32 v11, 0xffffff88, v2
	s_and_saveexec_b32 s7, s33
	s_xor_b32 s34, exec_lo, s7
	s_cbranch_execz .LBB4_4
; %bb.3:                                ;   in Loop: Header=BB4_2 Depth=1
	v_mad_u64_u32 v[6:7], null, 0xfe5163ab, v9, 0
	v_cmp_lt_u32_e32 vcc_lo, 63, v11
	v_mov_b32_e32 v2, v7
	v_mad_u64_u32 v[7:8], null, 0x3c439041, v9, v[2:3]
	v_mov_b32_e32 v2, v8
	v_cndmask_b32_e64 v8, 0, 0xffffffc0, vcc_lo
	v_mad_u64_u32 v[12:13], null, 0xdb629599, v9, v[2:3]
	v_add_nc_u32_e32 v8, v8, v11
	v_cmp_lt_u32_e64 s7, 31, v8
	v_mov_b32_e32 v2, v13
	v_cndmask_b32_e32 v6, v12, v6, vcc_lo
	v_cndmask_b32_e64 v10, 0, 0xffffffe0, s7
	v_mad_u64_u32 v[13:14], null, 0xf534ddc0, v9, v[2:3]
	v_add_nc_u32_e32 v8, v10, v8
	v_mov_b32_e32 v2, v14
	v_cmp_lt_u32_e64 s8, 31, v8
	v_cndmask_b32_e32 v7, v13, v7, vcc_lo
	v_mad_u64_u32 v[14:15], null, 0xfc2757d1, v9, v[2:3]
	v_cndmask_b32_e64 v6, v7, v6, s7
	v_mov_b32_e32 v2, v15
	v_mad_u64_u32 v[15:16], null, 0x4e441529, v9, v[2:3]
	v_mov_b32_e32 v2, v16
	v_cndmask_b32_e32 v10, v15, v13, vcc_lo
	v_mad_u64_u32 v[16:17], null, 0xa2f9836e, v9, v[2:3]
	v_cndmask_b32_e64 v2, 0, 0xffffffe0, s8
	v_add_nc_u32_e32 v2, v2, v8
	v_cndmask_b32_e32 v16, v16, v14, vcc_lo
	v_cndmask_b32_e32 v15, v17, v15, vcc_lo
	;; [unrolled: 1-line block ×3, first 2 shown]
	v_cmp_eq_u32_e32 vcc_lo, 0, v2
	v_cndmask_b32_e64 v8, v16, v10, s7
	v_cndmask_b32_e64 v13, v15, v16, s7
	;; [unrolled: 1-line block ×3, first 2 shown]
	v_sub_nc_u32_e32 v15, 32, v2
	v_cndmask_b32_e64 v14, v14, v7, s7
	v_cndmask_b32_e64 v13, v13, v8, s8
	;; [unrolled: 1-line block ×5, first 2 shown]
	v_alignbit_b32 v16, v13, v8, v15
	v_alignbit_b32 v12, v8, v10, v15
	;; [unrolled: 1-line block ×3, first 2 shown]
	v_cndmask_b32_e32 v2, v16, v13, vcc_lo
	v_cndmask_b32_e32 v7, v12, v8, vcc_lo
	;; [unrolled: 1-line block ×3, first 2 shown]
	v_bfe_u32 v8, v2, 29, 1
	v_alignbit_b32 v12, v2, v7, 30
	v_alignbit_b32 v7, v7, v10, 30
	;; [unrolled: 1-line block ×3, first 2 shown]
	v_sub_nc_u32_e32 v13, 0, v8
	v_xor_b32_e32 v12, v12, v13
	v_xor_b32_e32 v7, v7, v13
	;; [unrolled: 1-line block ×3, first 2 shown]
	v_lshrrev_b32_e32 v13, 29, v2
	v_lshrrev_b32_e32 v2, 30, v2
	v_ffbh_u32_e32 v14, v12
	v_min_u32_e32 v14, 32, v14
	v_sub_nc_u32_e32 v10, 31, v14
	v_lshlrev_b32_e32 v15, 23, v14
	v_alignbit_b32 v12, v12, v7, v10
	v_alignbit_b32 v6, v7, v6, v10
	v_lshlrev_b32_e32 v7, 31, v13
	v_alignbit_b32 v10, v12, v6, 9
	v_or_b32_e32 v13, 0.5, v7
	v_lshrrev_b32_e32 v12, 9, v12
	v_or_b32_e32 v7, 0x33000000, v7
	v_ffbh_u32_e32 v16, v10
	v_sub_nc_u32_e32 v13, v13, v15
	v_min_u32_e32 v15, 32, v16
	v_or_b32_e32 v12, v12, v13
	v_not_b32_e32 v13, v15
	v_mul_f32_e32 v16, 0x3fc90fda, v12
	v_add_lshl_u32 v14, v15, v14, 23
	v_alignbit_b32 v6, v10, v6, v13
	v_fma_f32 v10, 0x3fc90fda, v12, -v16
	v_sub_nc_u32_e32 v7, v7, v14
	v_lshrrev_b32_e32 v6, 9, v6
	v_fmac_f32_e32 v10, 0x33a22168, v12
	v_or_b32_e32 v6, v7, v6
	v_add_nc_u32_e32 v7, v8, v2
	v_fmac_f32_e32 v10, 0x3fc90fda, v6
	v_add_f32_e32 v6, v16, v10
.LBB4_4:                                ;   in Loop: Header=BB4_2 Depth=1
	s_or_saveexec_b32 s7, s34
	v_mul_f32_e64 v2, 0x3f22f983, |v4|
	v_rndne_f32_e32 v2, v2
	s_xor_b32 exec_lo, exec_lo, s7
; %bb.5:                                ;   in Loop: Header=BB4_2 Depth=1
	v_fma_f32 v6, 0xbfc90fda, v2, |v4|
	v_cvt_i32_f32_e32 v7, v2
	v_fmac_f32_e32 v6, 0xb3a22168, v2
	v_fmac_f32_e32 v6, 0xa7c234c4, v2
; %bb.6:                                ;   in Loop: Header=BB4_2 Depth=1
	s_or_b32 exec_lo, exec_lo, s7
                                        ; implicit-def: $vgpr10
                                        ; implicit-def: $vgpr8
	s_and_saveexec_b32 s7, s33
	s_xor_b32 s33, exec_lo, s7
	s_cbranch_execz .LBB4_8
; %bb.7:                                ;   in Loop: Header=BB4_2 Depth=1
	v_mad_u64_u32 v[12:13], null, 0xfe5163ab, v9, 0
	v_cmp_lt_u32_e32 vcc_lo, 63, v11
	v_cndmask_b32_e64 v8, 0, 0xffffffc0, vcc_lo
	v_mov_b32_e32 v2, v13
	v_add_nc_u32_e32 v8, v8, v11
	v_mad_u64_u32 v[13:14], null, 0x3c439041, v9, v[2:3]
	v_cmp_lt_u32_e64 s7, 31, v8
	v_mov_b32_e32 v2, v14
	v_mad_u64_u32 v[14:15], null, 0xdb629599, v9, v[2:3]
	v_mov_b32_e32 v2, v15
	v_cndmask_b32_e32 v12, v14, v12, vcc_lo
	v_mad_u64_u32 v[15:16], null, 0xf534ddc0, v9, v[2:3]
	v_mov_b32_e32 v2, v16
	v_mad_u64_u32 v[16:17], null, 0xfc2757d1, v9, v[2:3]
	v_mov_b32_e32 v2, v17
	v_cndmask_b32_e64 v17, 0, 0xffffffe0, s7
	v_mad_u64_u32 v[10:11], null, 0x4e441529, v9, v[2:3]
	v_mov_b32_e32 v2, v11
	v_add_nc_u32_e32 v11, v17, v8
	v_cndmask_b32_e32 v17, v10, v15, vcc_lo
	v_mad_u64_u32 v[8:9], null, 0xa2f9836e, v9, v[2:3]
	v_cmp_lt_u32_e64 s8, 31, v11
	v_cndmask_b32_e64 v2, 0, 0xffffffe0, s8
	v_cndmask_b32_e32 v8, v8, v16, vcc_lo
	v_cndmask_b32_e32 v9, v9, v10, vcc_lo
	;; [unrolled: 1-line block ×3, first 2 shown]
	v_add_nc_u32_e32 v2, v2, v11
	v_cndmask_b32_e32 v11, v15, v13, vcc_lo
	v_cndmask_b32_e64 v13, v8, v17, s7
	v_cndmask_b32_e64 v8, v9, v8, s7
	;; [unrolled: 1-line block ×3, first 2 shown]
	v_sub_nc_u32_e32 v15, 32, v2
	v_cndmask_b32_e64 v10, v10, v11, s7
	v_cmp_eq_u32_e32 vcc_lo, 0, v2
	v_cndmask_b32_e64 v8, v8, v13, s8
	v_cndmask_b32_e64 v13, v13, v9, s8
	;; [unrolled: 1-line block ×3, first 2 shown]
	v_alignbit_b32 v16, v8, v13, v15
	v_alignbit_b32 v14, v13, v9, v15
	v_cndmask_b32_e32 v2, v16, v8, vcc_lo
	v_cndmask_b32_e64 v8, v11, v12, s7
	v_cndmask_b32_e32 v11, v14, v13, vcc_lo
	v_bfe_u32 v12, v2, 29, 1
	v_cndmask_b32_e64 v8, v10, v8, s8
	v_alignbit_b32 v10, v2, v11, 30
	v_sub_nc_u32_e32 v13, 0, v12
	v_alignbit_b32 v14, v9, v8, v15
	v_xor_b32_e32 v10, v10, v13
	v_cndmask_b32_e32 v9, v14, v9, vcc_lo
	v_ffbh_u32_e32 v14, v10
	v_alignbit_b32 v11, v11, v9, 30
	v_alignbit_b32 v8, v9, v8, 30
	v_min_u32_e32 v14, 32, v14
	v_xor_b32_e32 v9, v11, v13
	v_xor_b32_e32 v8, v8, v13
	v_lshrrev_b32_e32 v13, 29, v2
	v_lshrrev_b32_e32 v2, 30, v2
	v_sub_nc_u32_e32 v11, 31, v14
	v_lshlrev_b32_e32 v15, 23, v14
	v_alignbit_b32 v10, v10, v9, v11
	v_alignbit_b32 v8, v9, v8, v11
	v_lshlrev_b32_e32 v9, 31, v13
	v_alignbit_b32 v11, v10, v8, 9
	v_or_b32_e32 v13, 0.5, v9
	v_lshrrev_b32_e32 v10, 9, v10
	v_or_b32_e32 v9, 0x33000000, v9
	v_ffbh_u32_e32 v16, v11
	v_sub_nc_u32_e32 v13, v13, v15
	v_min_u32_e32 v15, 32, v16
	v_or_b32_e32 v10, v10, v13
	v_not_b32_e32 v13, v15
	v_mul_f32_e32 v16, 0x3fc90fda, v10
	v_add_lshl_u32 v14, v15, v14, 23
	v_alignbit_b32 v8, v11, v8, v13
	v_fma_f32 v11, 0x3fc90fda, v10, -v16
	v_sub_nc_u32_e32 v9, v9, v14
	v_lshrrev_b32_e32 v8, 9, v8
	v_fmac_f32_e32 v11, 0x33a22168, v10
	v_add_nc_u32_e32 v10, v12, v2
                                        ; implicit-def: $vgpr2
	v_or_b32_e32 v8, v9, v8
	v_fmac_f32_e32 v11, 0x3fc90fda, v8
	v_add_f32_e32 v8, v16, v11
	s_andn2_saveexec_b32 s7, s33
	s_cbranch_execnz .LBB4_9
	s_branch .LBB4_10
.LBB4_8:                                ;   in Loop: Header=BB4_2 Depth=1
	s_andn2_saveexec_b32 s7, s33
.LBB4_9:                                ;   in Loop: Header=BB4_2 Depth=1
	v_fma_f32 v8, 0xbfc90fda, v2, |v4|
	v_cvt_i32_f32_e32 v10, v2
	v_fmac_f32_e32 v8, 0xb3a22168, v2
	v_fmac_f32_e32 v8, 0xa7c234c4, v2
.LBB4_10:                               ;   in Loop: Header=BB4_2 Depth=1
	s_or_b32 exec_lo, exec_lo, s7
	v_add_co_u32 v11, vcc_lo, s18, v0
	v_add_co_ci_u32_e64 v12, null, s19, v1, vcc_lo
                                        ; implicit-def: $vgpr13
	global_load_dword v9, v[11:12], off
                                        ; implicit-def: $vgpr12
	s_waitcnt vmcnt(0)
	v_and_b32_e32 v11, 0x7fffffff, v9
	v_cmp_ngt_f32_e64 s33, 0x48000000, |v9|
	v_lshrrev_b32_e32 v2, 23, v11
	v_and_or_b32 v15, v11, s29, 0x800000
	v_add_nc_u32_e32 v17, 0xffffff88, v2
	s_and_saveexec_b32 s7, s33
	s_xor_b32 s34, exec_lo, s7
	s_cbranch_execz .LBB4_12
; %bb.11:                               ;   in Loop: Header=BB4_2 Depth=1
	v_mad_u64_u32 v[12:13], null, 0xfe5163ab, v15, 0
	v_cmp_lt_u32_e32 vcc_lo, 63, v17
	v_mov_b32_e32 v2, v13
	v_mad_u64_u32 v[13:14], null, 0x3c439041, v15, v[2:3]
	v_mov_b32_e32 v2, v14
	v_cndmask_b32_e64 v14, 0, 0xffffffc0, vcc_lo
	v_mad_u64_u32 v[18:19], null, 0xdb629599, v15, v[2:3]
	v_add_nc_u32_e32 v14, v14, v17
	v_cmp_lt_u32_e64 s7, 31, v14
	v_mov_b32_e32 v2, v19
	v_cndmask_b32_e32 v12, v18, v12, vcc_lo
	v_cndmask_b32_e64 v16, 0, 0xffffffe0, s7
	v_mad_u64_u32 v[19:20], null, 0xf534ddc0, v15, v[2:3]
	v_add_nc_u32_e32 v14, v16, v14
	v_mov_b32_e32 v2, v20
	v_cmp_lt_u32_e64 s8, 31, v14
	v_cndmask_b32_e32 v13, v19, v13, vcc_lo
	v_mad_u64_u32 v[20:21], null, 0xfc2757d1, v15, v[2:3]
	v_cndmask_b32_e64 v12, v13, v12, s7
	v_mov_b32_e32 v2, v21
	v_mad_u64_u32 v[21:22], null, 0x4e441529, v15, v[2:3]
	v_mov_b32_e32 v2, v22
	v_cndmask_b32_e32 v16, v21, v19, vcc_lo
	v_mad_u64_u32 v[22:23], null, 0xa2f9836e, v15, v[2:3]
	v_cndmask_b32_e64 v2, 0, 0xffffffe0, s8
	v_add_nc_u32_e32 v2, v2, v14
	v_cndmask_b32_e32 v22, v22, v20, vcc_lo
	v_cndmask_b32_e32 v21, v23, v21, vcc_lo
	;; [unrolled: 1-line block ×3, first 2 shown]
	v_cmp_eq_u32_e32 vcc_lo, 0, v2
	v_cndmask_b32_e64 v14, v22, v16, s7
	v_cndmask_b32_e64 v19, v21, v22, s7
	;; [unrolled: 1-line block ×3, first 2 shown]
	v_sub_nc_u32_e32 v21, 32, v2
	v_cndmask_b32_e64 v20, v20, v13, s7
	v_cndmask_b32_e64 v19, v19, v14, s8
	;; [unrolled: 1-line block ×5, first 2 shown]
	v_alignbit_b32 v22, v19, v14, v21
	v_alignbit_b32 v18, v14, v16, v21
	;; [unrolled: 1-line block ×3, first 2 shown]
	v_cndmask_b32_e32 v2, v22, v19, vcc_lo
	v_cndmask_b32_e32 v13, v18, v14, vcc_lo
	;; [unrolled: 1-line block ×3, first 2 shown]
	v_bfe_u32 v14, v2, 29, 1
	v_alignbit_b32 v18, v2, v13, 30
	v_alignbit_b32 v13, v13, v16, 30
	;; [unrolled: 1-line block ×3, first 2 shown]
	v_sub_nc_u32_e32 v19, 0, v14
	v_xor_b32_e32 v18, v18, v19
	v_xor_b32_e32 v13, v13, v19
	;; [unrolled: 1-line block ×3, first 2 shown]
	v_lshrrev_b32_e32 v19, 29, v2
	v_lshrrev_b32_e32 v2, 30, v2
	v_ffbh_u32_e32 v20, v18
	v_min_u32_e32 v20, 32, v20
	v_sub_nc_u32_e32 v16, 31, v20
	v_lshlrev_b32_e32 v21, 23, v20
	v_alignbit_b32 v18, v18, v13, v16
	v_alignbit_b32 v12, v13, v12, v16
	v_lshlrev_b32_e32 v13, 31, v19
	v_alignbit_b32 v16, v18, v12, 9
	v_or_b32_e32 v19, 0.5, v13
	v_lshrrev_b32_e32 v18, 9, v18
	v_or_b32_e32 v13, 0x33000000, v13
	v_ffbh_u32_e32 v22, v16
	v_sub_nc_u32_e32 v19, v19, v21
	v_min_u32_e32 v21, 32, v22
	v_or_b32_e32 v18, v18, v19
	v_not_b32_e32 v19, v21
	v_mul_f32_e32 v22, 0x3fc90fda, v18
	v_add_lshl_u32 v20, v21, v20, 23
	v_alignbit_b32 v12, v16, v12, v19
	v_fma_f32 v16, 0x3fc90fda, v18, -v22
	v_sub_nc_u32_e32 v13, v13, v20
	v_lshrrev_b32_e32 v12, 9, v12
	v_fmac_f32_e32 v16, 0x33a22168, v18
	v_or_b32_e32 v12, v13, v12
	v_add_nc_u32_e32 v13, v14, v2
	v_fmac_f32_e32 v16, 0x3fc90fda, v12
	v_add_f32_e32 v12, v22, v16
.LBB4_12:                               ;   in Loop: Header=BB4_2 Depth=1
	s_or_saveexec_b32 s7, s34
	v_mul_f32_e64 v2, 0x3f22f983, |v9|
	v_rndne_f32_e32 v2, v2
	s_xor_b32 exec_lo, exec_lo, s7
; %bb.13:                               ;   in Loop: Header=BB4_2 Depth=1
	v_fma_f32 v12, 0xbfc90fda, v2, |v9|
	v_cvt_i32_f32_e32 v13, v2
	v_fmac_f32_e32 v12, 0xb3a22168, v2
	v_fmac_f32_e32 v12, 0xa7c234c4, v2
; %bb.14:                               ;   in Loop: Header=BB4_2 Depth=1
	s_or_b32 exec_lo, exec_lo, s7
                                        ; implicit-def: $vgpr16
                                        ; implicit-def: $vgpr14
	s_and_saveexec_b32 s7, s33
	s_xor_b32 s33, exec_lo, s7
	s_cbranch_execz .LBB4_16
; %bb.15:                               ;   in Loop: Header=BB4_2 Depth=1
	v_mad_u64_u32 v[18:19], null, 0xfe5163ab, v15, 0
	v_cmp_lt_u32_e32 vcc_lo, 63, v17
	v_cndmask_b32_e64 v14, 0, 0xffffffc0, vcc_lo
	v_mov_b32_e32 v2, v19
	v_add_nc_u32_e32 v14, v14, v17
	v_mad_u64_u32 v[19:20], null, 0x3c439041, v15, v[2:3]
	v_cmp_lt_u32_e64 s7, 31, v14
	v_mov_b32_e32 v2, v20
	v_mad_u64_u32 v[20:21], null, 0xdb629599, v15, v[2:3]
	v_mov_b32_e32 v2, v21
	v_cndmask_b32_e32 v18, v20, v18, vcc_lo
	v_mad_u64_u32 v[21:22], null, 0xf534ddc0, v15, v[2:3]
	v_mov_b32_e32 v2, v22
	v_mad_u64_u32 v[22:23], null, 0xfc2757d1, v15, v[2:3]
	v_mov_b32_e32 v2, v23
	v_cndmask_b32_e64 v23, 0, 0xffffffe0, s7
	v_mad_u64_u32 v[16:17], null, 0x4e441529, v15, v[2:3]
	v_mov_b32_e32 v2, v17
	v_add_nc_u32_e32 v17, v23, v14
	v_cndmask_b32_e32 v23, v16, v21, vcc_lo
	v_mad_u64_u32 v[14:15], null, 0xa2f9836e, v15, v[2:3]
	v_cmp_lt_u32_e64 s8, 31, v17
	v_cndmask_b32_e64 v2, 0, 0xffffffe0, s8
	v_cndmask_b32_e32 v14, v14, v22, vcc_lo
	v_cndmask_b32_e32 v15, v15, v16, vcc_lo
	;; [unrolled: 1-line block ×3, first 2 shown]
	v_add_nc_u32_e32 v2, v2, v17
	v_cndmask_b32_e32 v17, v21, v19, vcc_lo
	v_cndmask_b32_e64 v19, v14, v23, s7
	v_cndmask_b32_e64 v14, v15, v14, s7
	;; [unrolled: 1-line block ×3, first 2 shown]
	v_sub_nc_u32_e32 v21, 32, v2
	v_cndmask_b32_e64 v16, v16, v17, s7
	v_cmp_eq_u32_e32 vcc_lo, 0, v2
	v_cndmask_b32_e64 v14, v14, v19, s8
	v_cndmask_b32_e64 v19, v19, v15, s8
	;; [unrolled: 1-line block ×3, first 2 shown]
	v_alignbit_b32 v22, v14, v19, v21
	v_alignbit_b32 v20, v19, v15, v21
	v_cndmask_b32_e32 v2, v22, v14, vcc_lo
	v_cndmask_b32_e64 v14, v17, v18, s7
	v_cndmask_b32_e32 v17, v20, v19, vcc_lo
	v_bfe_u32 v18, v2, 29, 1
	v_cndmask_b32_e64 v14, v16, v14, s8
	v_alignbit_b32 v16, v2, v17, 30
	v_sub_nc_u32_e32 v19, 0, v18
	v_alignbit_b32 v20, v15, v14, v21
	v_xor_b32_e32 v16, v16, v19
	v_cndmask_b32_e32 v15, v20, v15, vcc_lo
	v_ffbh_u32_e32 v20, v16
	v_alignbit_b32 v17, v17, v15, 30
	v_alignbit_b32 v14, v15, v14, 30
	v_min_u32_e32 v20, 32, v20
	v_xor_b32_e32 v15, v17, v19
	v_xor_b32_e32 v14, v14, v19
	v_lshrrev_b32_e32 v19, 29, v2
	v_lshrrev_b32_e32 v2, 30, v2
	v_sub_nc_u32_e32 v17, 31, v20
	v_lshlrev_b32_e32 v21, 23, v20
	v_alignbit_b32 v16, v16, v15, v17
	v_alignbit_b32 v14, v15, v14, v17
	v_lshlrev_b32_e32 v15, 31, v19
	v_alignbit_b32 v17, v16, v14, 9
	v_or_b32_e32 v19, 0.5, v15
	v_lshrrev_b32_e32 v16, 9, v16
	v_or_b32_e32 v15, 0x33000000, v15
	v_ffbh_u32_e32 v22, v17
	v_sub_nc_u32_e32 v19, v19, v21
	v_min_u32_e32 v21, 32, v22
	v_or_b32_e32 v16, v16, v19
	v_not_b32_e32 v19, v21
	v_mul_f32_e32 v22, 0x3fc90fda, v16
	v_add_lshl_u32 v20, v21, v20, 23
	v_alignbit_b32 v14, v17, v14, v19
	v_fma_f32 v17, 0x3fc90fda, v16, -v22
	v_sub_nc_u32_e32 v15, v15, v20
	v_lshrrev_b32_e32 v14, 9, v14
	v_fmac_f32_e32 v17, 0x33a22168, v16
	v_add_nc_u32_e32 v16, v18, v2
                                        ; implicit-def: $vgpr2
	v_or_b32_e32 v14, v15, v14
	v_fmac_f32_e32 v17, 0x3fc90fda, v14
	v_add_f32_e32 v14, v22, v17
	s_andn2_saveexec_b32 s7, s33
	s_cbranch_execnz .LBB4_17
	s_branch .LBB4_18
.LBB4_16:                               ;   in Loop: Header=BB4_2 Depth=1
	s_andn2_saveexec_b32 s7, s33
.LBB4_17:                               ;   in Loop: Header=BB4_2 Depth=1
	v_fma_f32 v14, 0xbfc90fda, v2, |v9|
	v_cvt_i32_f32_e32 v16, v2
	v_fmac_f32_e32 v14, 0xb3a22168, v2
	v_fmac_f32_e32 v14, 0xa7c234c4, v2
.LBB4_18:                               ;   in Loop: Header=BB4_2 Depth=1
	s_or_b32 exec_lo, exec_lo, s7
	v_add_co_u32 v17, vcc_lo, s20, v0
	v_add_co_ci_u32_e64 v18, null, s21, v1, vcc_lo
                                        ; implicit-def: $vgpr19
	global_load_dword v15, v[17:18], off
                                        ; implicit-def: $vgpr18
	s_waitcnt vmcnt(0)
	v_and_b32_e32 v17, 0x7fffffff, v15
	v_cmp_ngt_f32_e64 s33, 0x48000000, |v15|
	v_lshrrev_b32_e32 v2, 23, v17
	v_and_or_b32 v20, v17, s29, 0x800000
	v_add_nc_u32_e32 v21, 0xffffff88, v2
	s_and_saveexec_b32 s7, s33
	s_xor_b32 s34, exec_lo, s7
	s_cbranch_execz .LBB4_20
; %bb.19:                               ;   in Loop: Header=BB4_2 Depth=1
	v_mad_u64_u32 v[18:19], null, 0xfe5163ab, v20, 0
	v_cmp_lt_u32_e32 vcc_lo, 63, v21
	v_mov_b32_e32 v2, v19
	v_cndmask_b32_e64 v19, 0, 0xffffffc0, vcc_lo
	v_mad_u64_u32 v[22:23], null, 0x3c439041, v20, v[2:3]
	v_add_nc_u32_e32 v19, v19, v21
	v_cmp_lt_u32_e64 s7, 31, v19
	v_mov_b32_e32 v2, v23
	v_cndmask_b32_e64 v28, 0, 0xffffffe0, s7
	v_mad_u64_u32 v[23:24], null, 0xdb629599, v20, v[2:3]
	v_add_nc_u32_e32 v19, v28, v19
	v_mov_b32_e32 v2, v24
	v_cmp_lt_u32_e64 s8, 31, v19
	v_cndmask_b32_e32 v18, v23, v18, vcc_lo
	v_mad_u64_u32 v[24:25], null, 0xf534ddc0, v20, v[2:3]
	v_mov_b32_e32 v2, v25
	v_mad_u64_u32 v[25:26], null, 0xfc2757d1, v20, v[2:3]
	v_mov_b32_e32 v2, v26
	;; [unrolled: 2-line block ×3, first 2 shown]
	v_cndmask_b32_e32 v29, v26, v24, vcc_lo
	v_mad_u64_u32 v[27:28], null, 0xa2f9836e, v20, v[2:3]
	v_cndmask_b32_e64 v2, 0, 0xffffffe0, s8
	v_add_nc_u32_e32 v2, v2, v19
	v_cndmask_b32_e32 v27, v27, v25, vcc_lo
	v_cndmask_b32_e32 v26, v28, v26, vcc_lo
	;; [unrolled: 1-line block ×4, first 2 shown]
	v_cmp_eq_u32_e32 vcc_lo, 0, v2
	v_cndmask_b32_e64 v22, v27, v29, s7
	v_cndmask_b32_e64 v24, v26, v27, s7
	;; [unrolled: 1-line block ×3, first 2 shown]
	v_sub_nc_u32_e32 v27, 32, v2
	v_cndmask_b32_e64 v25, v25, v19, s7
	v_cndmask_b32_e64 v18, v19, v18, s7
	;; [unrolled: 1-line block ×6, first 2 shown]
	v_alignbit_b32 v28, v24, v22, v27
	v_alignbit_b32 v23, v22, v26, v27
	;; [unrolled: 1-line block ×3, first 2 shown]
	v_cndmask_b32_e32 v2, v28, v24, vcc_lo
	v_cndmask_b32_e32 v19, v23, v22, vcc_lo
	;; [unrolled: 1-line block ×3, first 2 shown]
	v_bfe_u32 v22, v2, 29, 1
	v_alignbit_b32 v23, v2, v19, 30
	v_alignbit_b32 v19, v19, v25, 30
	;; [unrolled: 1-line block ×3, first 2 shown]
	v_sub_nc_u32_e32 v24, 0, v22
	v_xor_b32_e32 v23, v23, v24
	v_xor_b32_e32 v19, v19, v24
	;; [unrolled: 1-line block ×3, first 2 shown]
	v_lshrrev_b32_e32 v24, 29, v2
	v_lshrrev_b32_e32 v2, 30, v2
	v_ffbh_u32_e32 v26, v23
	v_min_u32_e32 v26, 32, v26
	v_sub_nc_u32_e32 v25, 31, v26
	v_lshlrev_b32_e32 v27, 23, v26
	v_alignbit_b32 v23, v23, v19, v25
	v_alignbit_b32 v18, v19, v18, v25
	v_lshlrev_b32_e32 v19, 31, v24
	v_alignbit_b32 v24, v23, v18, 9
	v_or_b32_e32 v25, 0.5, v19
	v_lshrrev_b32_e32 v23, 9, v23
	v_or_b32_e32 v19, 0x33000000, v19
	v_ffbh_u32_e32 v28, v24
	v_sub_nc_u32_e32 v25, v25, v27
	v_min_u32_e32 v27, 32, v28
	v_or_b32_e32 v23, v23, v25
	v_not_b32_e32 v25, v27
	v_mul_f32_e32 v28, 0x3fc90fda, v23
	v_add_lshl_u32 v26, v27, v26, 23
	v_alignbit_b32 v18, v24, v18, v25
	v_fma_f32 v24, 0x3fc90fda, v23, -v28
	v_sub_nc_u32_e32 v19, v19, v26
	v_lshrrev_b32_e32 v18, 9, v18
	v_fmac_f32_e32 v24, 0x33a22168, v23
	v_or_b32_e32 v18, v19, v18
	v_add_nc_u32_e32 v19, v22, v2
	v_fmac_f32_e32 v24, 0x3fc90fda, v18
	v_add_f32_e32 v18, v28, v24
.LBB4_20:                               ;   in Loop: Header=BB4_2 Depth=1
	s_or_saveexec_b32 s7, s34
	v_mul_f32_e64 v2, 0x3f22f983, |v15|
	v_rndne_f32_e32 v23, v2
	s_xor_b32 exec_lo, exec_lo, s7
; %bb.21:                               ;   in Loop: Header=BB4_2 Depth=1
	v_fma_f32 v18, 0xbfc90fda, v23, |v15|
	v_cvt_i32_f32_e32 v19, v23
	v_fmac_f32_e32 v18, 0xb3a22168, v23
	v_fmac_f32_e32 v18, 0xa7c234c4, v23
; %bb.22:                               ;   in Loop: Header=BB4_2 Depth=1
	s_or_b32 exec_lo, exec_lo, s7
                                        ; implicit-def: $vgpr22
                                        ; implicit-def: $vgpr2
	s_and_saveexec_b32 s7, s33
	s_xor_b32 s33, exec_lo, s7
	s_cbranch_execz .LBB4_24
; %bb.23:                               ;   in Loop: Header=BB4_2 Depth=1
	v_mad_u64_u32 v[22:23], null, 0xfe5163ab, v20, 0
	v_cmp_lt_u32_e32 vcc_lo, 63, v21
	v_cndmask_b32_e64 v28, 0, 0xffffffc0, vcc_lo
	v_mov_b32_e32 v2, v23
	v_add_nc_u32_e32 v21, v28, v21
	v_mad_u64_u32 v[23:24], null, 0x3c439041, v20, v[2:3]
	v_cmp_lt_u32_e64 s7, 31, v21
	v_mov_b32_e32 v2, v24
	v_cndmask_b32_e64 v29, 0, 0xffffffe0, s7
	v_mad_u64_u32 v[24:25], null, 0xdb629599, v20, v[2:3]
	v_mov_b32_e32 v2, v25
	v_cndmask_b32_e32 v22, v24, v22, vcc_lo
	v_mad_u64_u32 v[25:26], null, 0xf534ddc0, v20, v[2:3]
	v_mov_b32_e32 v2, v26
	v_cndmask_b32_e32 v23, v25, v23, vcc_lo
	v_mad_u64_u32 v[26:27], null, 0xfc2757d1, v20, v[2:3]
	v_mov_b32_e32 v2, v27
	v_mad_u64_u32 v[27:28], null, 0x4e441529, v20, v[2:3]
	v_mov_b32_e32 v2, v28
	v_add_nc_u32_e32 v28, v29, v21
	v_cndmask_b32_e32 v29, v27, v25, vcc_lo
	v_mad_u64_u32 v[20:21], null, 0xa2f9836e, v20, v[2:3]
	v_cmp_lt_u32_e64 s8, 31, v28
	v_cndmask_b32_e64 v2, 0, 0xffffffe0, s8
	v_cndmask_b32_e32 v20, v20, v26, vcc_lo
	v_cndmask_b32_e32 v21, v21, v27, vcc_lo
	;; [unrolled: 1-line block ×3, first 2 shown]
	v_add_nc_u32_e32 v2, v2, v28
	v_cndmask_b32_e64 v25, v20, v29, s7
	v_cndmask_b32_e64 v20, v21, v20, s7
	v_cndmask_b32_e64 v21, v29, v26, s7
	v_cndmask_b32_e64 v26, v26, v23, s7
	v_sub_nc_u32_e32 v27, 32, v2
	v_cmp_eq_u32_e32 vcc_lo, 0, v2
	v_cndmask_b32_e64 v20, v20, v25, s8
	v_cndmask_b32_e64 v25, v25, v21, s8
	v_cndmask_b32_e64 v21, v21, v26, s8
	v_alignbit_b32 v28, v20, v25, v27
	v_alignbit_b32 v24, v25, v21, v27
	v_cndmask_b32_e32 v2, v28, v20, vcc_lo
	v_cndmask_b32_e64 v20, v23, v22, s7
	v_cndmask_b32_e32 v22, v24, v25, vcc_lo
	v_bfe_u32 v23, v2, 29, 1
	v_cndmask_b32_e64 v20, v26, v20, s8
	v_alignbit_b32 v24, v2, v22, 30
	v_sub_nc_u32_e32 v25, 0, v23
	v_alignbit_b32 v26, v21, v20, v27
	v_xor_b32_e32 v24, v24, v25
	v_cndmask_b32_e32 v21, v26, v21, vcc_lo
	v_ffbh_u32_e32 v26, v24
	v_alignbit_b32 v22, v22, v21, 30
	v_alignbit_b32 v20, v21, v20, 30
	v_min_u32_e32 v26, 32, v26
	v_xor_b32_e32 v21, v22, v25
	v_xor_b32_e32 v20, v20, v25
	v_lshrrev_b32_e32 v25, 29, v2
	v_sub_nc_u32_e32 v22, 31, v26
	v_lshlrev_b32_e32 v27, 23, v26
	v_alignbit_b32 v24, v24, v21, v22
	v_alignbit_b32 v20, v21, v20, v22
	v_lshlrev_b32_e32 v21, 31, v25
	v_alignbit_b32 v22, v24, v20, 9
	v_or_b32_e32 v25, 0.5, v21
	v_lshrrev_b32_e32 v24, 9, v24
	v_or_b32_e32 v21, 0x33000000, v21
	v_ffbh_u32_e32 v28, v22
	v_sub_nc_u32_e32 v25, v25, v27
	v_min_u32_e32 v27, 32, v28
	v_or_b32_e32 v24, v24, v25
	v_not_b32_e32 v25, v27
	v_mul_f32_e32 v28, 0x3fc90fda, v24
	v_add_lshl_u32 v26, v27, v26, 23
	v_alignbit_b32 v20, v22, v20, v25
	v_fma_f32 v22, 0x3fc90fda, v24, -v28
	v_sub_nc_u32_e32 v21, v21, v26
	v_lshrrev_b32_e32 v20, 9, v20
	v_fmac_f32_e32 v22, 0x33a22168, v24
	v_or_b32_e32 v20, v21, v20
	v_fmac_f32_e32 v22, 0x3fc90fda, v20
	v_lshrrev_b32_e32 v20, 30, v2
	v_add_f32_e32 v2, v28, v22
	v_add_nc_u32_e32 v22, v23, v20
                                        ; implicit-def: $vgpr23
	s_andn2_saveexec_b32 s7, s33
	s_cbranch_execz .LBB4_1
	s_branch .LBB4_25
.LBB4_24:                               ;   in Loop: Header=BB4_2 Depth=1
	s_andn2_saveexec_b32 s7, s33
	s_cbranch_execz .LBB4_1
.LBB4_25:                               ;   in Loop: Header=BB4_2 Depth=1
	v_fma_f32 v2, 0xbfc90fda, v23, |v15|
	v_cvt_i32_f32_e32 v22, v23
	v_fmac_f32_e32 v2, 0xb3a22168, v23
	v_fmac_f32_e32 v2, 0xa7c234c4, v23
	s_branch .LBB4_1
.LBB4_26:
	s_clause 0x1
	s_load_dwordx2 s[8:9], s[4:5], 0x0
	s_load_dwordx4 s[16:19], s[4:5], 0x48
	buffer_load_dword v0, off, s[0:3], 0 offset:140
	v_mov_b32_e32 v113, 0
	s_mov_b32 s21, 0
	s_mov_b32 s20, s21
	s_waitcnt lgkmcnt(0)
	s_max_i32 s24, s9, 1
	s_max_i32 s25, s8, 1
	s_add_u32 s12, s12, 8
	s_addc_u32 s13, s13, 0
	s_waitcnt vmcnt(0)
	buffer_store_dword v0, off, s[0:3], 0 offset:832 ; 4-byte Folded Spill
	buffer_load_dword v0, off, s[0:3], 0 offset:128
	s_waitcnt vmcnt(0)
	buffer_store_dword v0, off, s[0:3], 0 offset:836 ; 4-byte Folded Spill
	buffer_load_dword v0, off, s[0:3], 0 offset:132
	;; [unrolled: 3-line block ×91, first 2 shown]
	s_waitcnt vmcnt(0)
	buffer_store_dword v0, off, s[0:3], 0 offset:1196 ; 4-byte Folded Spill
	s_clause 0x4
	buffer_load_dword v76, off, s[0:3], 0 offset:12
	buffer_load_dword v78, off, s[0:3], 0 offset:8
	;; [unrolled: 1-line block ×3, first 2 shown]
	buffer_load_dword v84, off, s[0:3], 0
	buffer_load_dword v0, off, s[0:3], 0 offset:80
	s_waitcnt vmcnt(0)
	buffer_store_dword v0, off, s[0:3], 0 offset:1200 ; 4-byte Folded Spill
	buffer_load_dword v0, off, s[0:3], 0 offset:84
	s_waitcnt vmcnt(0)
	buffer_store_dword v0, off, s[0:3], 0 offset:1204 ; 4-byte Folded Spill
	buffer_load_dword v0, off, s[0:3], 0 offset:88
	s_waitcnt vmcnt(0)
	buffer_store_dword v0, off, s[0:3], 0 offset:1208 ; 4-byte Folded Spill
	buffer_load_dword v0, off, s[0:3], 0 offset:92
	s_waitcnt vmcnt(0)
	buffer_store_dword v0, off, s[0:3], 0 offset:1212 ; 4-byte Folded Spill
	s_clause 0x4
	buffer_load_dword v73, off, s[0:3], 0 offset:28
	buffer_load_dword v74, off, s[0:3], 0 offset:24
	buffer_load_dword v75, off, s[0:3], 0 offset:20
	buffer_load_dword v77, off, s[0:3], 0 offset:16
	buffer_load_dword v0, off, s[0:3], 0 offset:96
	s_waitcnt vmcnt(0)
	buffer_store_dword v0, off, s[0:3], 0 offset:1216 ; 4-byte Folded Spill
	buffer_load_dword v0, off, s[0:3], 0 offset:100
	s_waitcnt vmcnt(0)
	buffer_store_dword v0, off, s[0:3], 0 offset:1220 ; 4-byte Folded Spill
	buffer_load_dword v0, off, s[0:3], 0 offset:104
	s_waitcnt vmcnt(0)
	buffer_store_dword v0, off, s[0:3], 0 offset:1224 ; 4-byte Folded Spill
	buffer_load_dword v0, off, s[0:3], 0 offset:108
	s_waitcnt vmcnt(0)
	buffer_store_dword v0, off, s[0:3], 0 offset:1228 ; 4-byte Folded Spill
	s_clause 0x4
	buffer_load_dword v69, off, s[0:3], 0 offset:44
	buffer_load_dword v70, off, s[0:3], 0 offset:40
	buffer_load_dword v71, off, s[0:3], 0 offset:36
	buffer_load_dword v72, off, s[0:3], 0 offset:32
	;; [unrolled: 17-line block ×3, first 2 shown]
	buffer_load_dword v0, off, s[0:3], 0 offset:492
	s_waitcnt vmcnt(0)
	buffer_store_dword v0, off, s[0:3], 0 offset:1248 ; 4-byte Folded Spill
	buffer_load_dword v0, off, s[0:3], 0 offset:480
	s_waitcnt vmcnt(0)
	buffer_store_dword v0, off, s[0:3], 0 offset:1252 ; 4-byte Folded Spill
	;; [unrolled: 3-line block ×44, first 2 shown]
	s_clause 0x2b
	buffer_load_dword v53, off, s[0:3], 0 offset:656
	buffer_load_dword v54, off, s[0:3], 0 offset:660
	;; [unrolled: 1-line block ×44, first 2 shown]
.LBB4_27:                               ; =>This Loop Header: Depth=1
                                        ;     Child Loop BB4_28 Depth 2
	s_lshl_b64 s[4:5], s[20:21], 4
	s_mov_b32 s26, s24
	s_add_u32 s4, s14, s4
	s_addc_u32 s5, s15, s5
	s_mov_b64 s[22:23], s[12:13]
	global_load_dwordx4 v[0:3], v113, s[4:5]
	s_clause 0x1
	buffer_load_dword v5, off, s[0:3], 0 offset:1184
	buffer_load_dword v6, off, s[0:3], 0 offset:1196
	s_waitcnt vmcnt(2)
	v_fma_f32 v32, v0, v59, v57
	s_waitcnt vmcnt(0)
	v_fma_f32 v114, v0, v5, v6
	buffer_load_dword v5, off, s[0:3], 0 offset:1188 ; 4-byte Folded Reload
	v_fma_f32 v33, v0, v62, v61
	v_fma_f32 v34, v0, v80, v79
	;; [unrolled: 1-line block ×9, first 2 shown]
	v_ashrrev_i32_e32 v4, 31, v3
	v_fmac_f32_e32 v32, v1, v60
	v_fmac_f32_e32 v33, v1, v63
	;; [unrolled: 1-line block ×20, first 2 shown]
	s_waitcnt vmcnt(0)
	v_fmac_f32_e32 v114, v1, v5
	s_clause 0x1
	buffer_load_dword v5, off, s[0:3], 0 offset:1200
	buffer_load_dword v6, off, s[0:3], 0 offset:1212
	s_waitcnt vmcnt(0)
	v_fma_f32 v115, v0, v5, v6
	buffer_load_dword v5, off, s[0:3], 0 offset:1204 ; 4-byte Folded Reload
	s_waitcnt vmcnt(0)
	v_fmac_f32_e32 v115, v1, v5
	s_clause 0x1
	buffer_load_dword v5, off, s[0:3], 0 offset:1216
	buffer_load_dword v6, off, s[0:3], 0 offset:1228
	s_waitcnt vmcnt(0)
	v_fma_f32 v116, v0, v5, v6
	buffer_load_dword v5, off, s[0:3], 0 offset:1220 ; 4-byte Folded Reload
	;; [unrolled: 8-line block ×36, first 2 shown]
	s_waitcnt vmcnt(0)
	v_fmac_f32_e32 v30, v1, v5
	buffer_load_dword v5, off, s[0:3], 0 offset:1420 ; 4-byte Folded Reload
	v_fmac_f32_e32 v30, v2, v56
	s_waitcnt vmcnt(0)
	v_fma_f32 v31, v0, v53, v5
	buffer_load_dword v0, off, s[0:3], 0 offset:1192 ; 4-byte Folded Reload
	v_fmac_f32_e32 v31, v1, v54
	v_fmac_f32_e32 v31, v2, v55
	s_waitcnt vmcnt(0)
	v_fmac_f32_e32 v114, v2, v0
	buffer_load_dword v0, off, s[0:3], 0 offset:1208 ; 4-byte Folded Reload
	s_waitcnt vmcnt(0)
	v_fmac_f32_e32 v115, v2, v0
	buffer_load_dword v0, off, s[0:3], 0 offset:1224 ; 4-byte Folded Reload
	s_waitcnt vmcnt(0)
	v_fmac_f32_e32 v116, v2, v0
	buffer_load_dword v0, off, s[0:3], 0 offset:1240 ; 4-byte Folded Reload
	s_waitcnt vmcnt(0)
	v_fmac_f32_e32 v117, v2, v0
	buffer_load_dword v0, off, s[0:3], 0 offset:860 ; 4-byte Folded Reload
	s_waitcnt vmcnt(0)
	v_fmac_f32_e32 v118, v2, v0
	buffer_load_dword v0, off, s[0:3], 0 offset:856 ; 4-byte Folded Reload
	s_waitcnt vmcnt(0)
	v_fmac_f32_e32 v119, v2, v0
	buffer_load_dword v0, off, s[0:3], 0 offset:892 ; 4-byte Folded Reload
	s_waitcnt vmcnt(0)
	v_fmac_f32_e32 v120, v2, v0
	buffer_load_dword v0, off, s[0:3], 0 offset:888 ; 4-byte Folded Reload
	s_waitcnt vmcnt(0)
	v_fmac_f32_e32 v121, v2, v0
	buffer_load_dword v0, off, s[0:3], 0 offset:924 ; 4-byte Folded Reload
	s_waitcnt vmcnt(0)
	v_fmac_f32_e32 v122, v2, v0
	buffer_load_dword v0, off, s[0:3], 0 offset:920 ; 4-byte Folded Reload
	s_waitcnt vmcnt(0)
	v_fmac_f32_e32 v123, v2, v0
	buffer_load_dword v0, off, s[0:3], 0 offset:956 ; 4-byte Folded Reload
	s_waitcnt vmcnt(0)
	v_fmac_f32_e32 v124, v2, v0
	buffer_load_dword v0, off, s[0:3], 0 offset:952 ; 4-byte Folded Reload
	s_waitcnt vmcnt(0)
	v_fmac_f32_e32 v125, v2, v0
	buffer_load_dword v0, off, s[0:3], 0 offset:988 ; 4-byte Folded Reload
	s_waitcnt vmcnt(0)
	v_fmac_f32_e32 v126, v2, v0
	buffer_load_dword v0, off, s[0:3], 0 offset:984 ; 4-byte Folded Reload
	s_waitcnt vmcnt(0)
	v_fmac_f32_e32 v127, v2, v0
	buffer_load_dword v0, off, s[0:3], 0 offset:1020 ; 4-byte Folded Reload
	s_waitcnt vmcnt(0)
	v_fmac_f32_e32 v8, v2, v0
	buffer_load_dword v0, off, s[0:3], 0 offset:1016 ; 4-byte Folded Reload
	s_waitcnt vmcnt(0)
	v_fmac_f32_e32 v9, v2, v0
	buffer_load_dword v0, off, s[0:3], 0 offset:1052 ; 4-byte Folded Reload
	s_waitcnt vmcnt(0)
	v_fmac_f32_e32 v10, v2, v0
	buffer_load_dword v0, off, s[0:3], 0 offset:1048 ; 4-byte Folded Reload
	s_waitcnt vmcnt(0)
	v_fmac_f32_e32 v11, v2, v0
	buffer_load_dword v0, off, s[0:3], 0 offset:1084 ; 4-byte Folded Reload
	s_waitcnt vmcnt(0)
	v_fmac_f32_e32 v12, v2, v0
	buffer_load_dword v0, off, s[0:3], 0 offset:1080 ; 4-byte Folded Reload
	s_waitcnt vmcnt(0)
	v_fmac_f32_e32 v13, v2, v0
	buffer_load_dword v0, off, s[0:3], 0 offset:1116 ; 4-byte Folded Reload
	s_waitcnt vmcnt(0)
	v_fmac_f32_e32 v14, v2, v0
	buffer_load_dword v0, off, s[0:3], 0 offset:1112 ; 4-byte Folded Reload
	s_waitcnt vmcnt(0)
	v_fmac_f32_e32 v15, v2, v0
	buffer_load_dword v0, off, s[0:3], 0 offset:1148 ; 4-byte Folded Reload
	s_waitcnt vmcnt(0)
	v_fmac_f32_e32 v16, v2, v0
	buffer_load_dword v0, off, s[0:3], 0 offset:1144 ; 4-byte Folded Reload
	s_waitcnt vmcnt(0)
	v_fmac_f32_e32 v17, v2, v0
	buffer_load_dword v0, off, s[0:3], 0 offset:1180 ; 4-byte Folded Reload
	s_waitcnt vmcnt(0)
	v_fmac_f32_e32 v18, v2, v0
	buffer_load_dword v0, off, s[0:3], 0 offset:1176 ; 4-byte Folded Reload
	s_waitcnt vmcnt(0)
	v_fmac_f32_e32 v19, v2, v0
	buffer_load_dword v0, off, s[0:3], 0 offset:1276 ; 4-byte Folded Reload
	s_waitcnt vmcnt(0)
	v_fmac_f32_e32 v20, v2, v0
	buffer_load_dword v0, off, s[0:3], 0 offset:1272 ; 4-byte Folded Reload
	s_waitcnt vmcnt(0)
	v_fmac_f32_e32 v21, v2, v0
	buffer_load_dword v0, off, s[0:3], 0 offset:1308 ; 4-byte Folded Reload
	s_waitcnt vmcnt(0)
	v_fmac_f32_e32 v22, v2, v0
	buffer_load_dword v0, off, s[0:3], 0 offset:1304 ; 4-byte Folded Reload
	s_waitcnt vmcnt(0)
	v_fmac_f32_e32 v23, v2, v0
	buffer_load_dword v0, off, s[0:3], 0 offset:1340 ; 4-byte Folded Reload
	s_waitcnt vmcnt(0)
	v_fmac_f32_e32 v24, v2, v0
	buffer_load_dword v0, off, s[0:3], 0 offset:1336 ; 4-byte Folded Reload
	s_waitcnt vmcnt(0)
	v_fmac_f32_e32 v25, v2, v0
	buffer_load_dword v0, off, s[0:3], 0 offset:1372 ; 4-byte Folded Reload
	s_waitcnt vmcnt(0)
	v_fmac_f32_e32 v26, v2, v0
	buffer_load_dword v0, off, s[0:3], 0 offset:1368 ; 4-byte Folded Reload
	s_waitcnt vmcnt(0)
	v_fmac_f32_e32 v27, v2, v0
	buffer_load_dword v0, off, s[0:3], 0 offset:1404 ; 4-byte Folded Reload
	s_waitcnt vmcnt(0)
	v_fmac_f32_e32 v28, v2, v0
	buffer_load_dword v0, off, s[0:3], 0 offset:1400 ; 4-byte Folded Reload
	s_waitcnt vmcnt(0)
	v_fmac_f32_e32 v29, v2, v0
	v_lshlrev_b64 v[0:1], 4, v[3:4]
	v_add_co_u32 v0, vcc_lo, s18, v0
	v_add_co_ci_u32_e64 v1, null, s19, v1, vcc_lo
	global_load_dwordx4 v[0:3], v[0:1], off
	s_waitcnt vmcnt(0)
	v_cmp_gt_f32_e64 s4, 0, v2
	v_cmp_lt_f32_e64 s5, 0, v2
	v_cmp_eq_u32_e64 s7, 0x46, v0
	v_cmp_eq_u32_e64 s8, 0x45, v0
.LBB4_28:                               ;   Parent Loop BB4_27 Depth=1
                                        ; =>  This Inner Loop Header: Depth=2
	global_load_dwordx4 v[4:7], v113, s[22:23] offset:-8
	v_cndmask_b32_e64 v46, 0xff7fffff, 1.0, s4
	s_waitcnt vmcnt(0)
	v_ashrrev_i32_e32 v43, 31, v7
	v_mov_b32_e32 v42, v7
	v_lshlrev_b64 v[42:43], 4, v[42:43]
	v_add_co_u32 v42, vcc_lo, s18, v42
	v_add_co_ci_u32_e64 v43, null, s19, v43, vcc_lo
	global_load_dwordx4 v[47:50], v[42:43], off
	s_waitcnt vmcnt(0)
	v_add_f32_e32 v42, v1, v48
	v_cmp_lt_f32_e64 s10, 0, v49
	v_div_scale_f32 v0, null, v42, v42, 1.0
	s_and_b32 s10, s10, s4
	v_cndmask_b32_e64 v48, v2, -v2, s10
	v_rcp_f32_e32 v7, v0
	v_fma_f32 v43, -v0, v7, 1.0
	v_fmac_f32_e32 v7, v43, v7
	v_div_scale_f32 v43, vcc_lo, 1.0, v42, 1.0
	v_mul_f32_e32 v44, v43, v7
	v_fma_f32 v45, -v0, v44, v43
	v_fmac_f32_e32 v44, v45, v7
	v_fma_f32 v0, -v0, v44, v43
	v_div_fmas_f32 v0, v0, v7, v44
	v_cmp_eq_u32_e32 vcc_lo, 0x46, v47
	v_cndmask_b32_e64 v7, 1.0, 0x40b00000, s4
	v_div_fixup_f32 v45, v0, v42, 1.0
	s_and_b32 s9, vcc_lo, s7
	v_cmp_eq_u32_e32 vcc_lo, 0x45, v47
	v_cndmask_b32_e64 v43, 2.0, 4.0, s9
	v_cndmask_b32_e64 v44, 0.5, 0x3e800000, s9
	v_cmp_neq_f32_e64 s9, 0, v49
	s_or_b32 s27, vcc_lo, s8
	v_cmp_gt_f32_e32 vcc_lo, 0, v49
	v_cndmask_b32_e32 v7, v46, v7, vcc_lo
	s_and_b32 s28, vcc_lo, s5
	v_cndmask_b32_e64 v0, v49, -v49, s28
	v_div_scale_f32 v46, null, v7, v7, 1.0
	v_add_f32_e32 v0, v0, v48
	v_sub_f32_e32 v48, v114, v4
	v_rcp_f32_e32 v47, v46
	v_fma_f32 v49, -v46, v47, 1.0
	v_fmac_f32_e32 v47, v49, v47
	v_div_scale_f32 v49, vcc_lo, 1.0, v7, 1.0
	v_mul_f32_e32 v51, v49, v47
	v_fma_f32 v52, -v46, v51, v49
	v_fmac_f32_e32 v51, v52, v47
	v_fma_f32 v46, -v46, v51, v49
	v_sub_f32_e32 v49, v115, v5
	v_div_fmas_f32 v46, v46, v47, v51
	v_mul_f32_e32 v49, v49, v49
	v_mul_f32_e32 v47, v3, v50
	v_sub_f32_e32 v50, v116, v6
	v_div_fixup_f32 v46, v46, v7, 1.0
	v_fmac_f32_e32 v49, v48, v48
	v_fmac_f32_e32 v49, v50, v50
	v_cmp_gt_f32_e32 vcc_lo, 0xf800000, v49
	v_mul_f32_e32 v48, 0x4f800000, v49
	v_cndmask_b32_e32 v48, v49, v48, vcc_lo
	v_sqrt_f32_e32 v49, v48
	v_add_nc_u32_e32 v50, -1, v49
	v_fma_f32 v51, -v50, v49, v48
	v_cmp_ge_f32_e64 s10, 0, v51
	v_add_nc_u32_e32 v51, 1, v49
	v_cndmask_b32_e64 v50, v49, v50, s10
	v_fma_f32 v49, -v51, v49, v48
	v_cmp_lt_f32_e64 s10, 0, v49
	v_cndmask_b32_e64 v49, v50, v51, s10
	v_mul_f32_e32 v50, 0x37800000, v49
	v_cndmask_b32_e32 v49, v49, v50, vcc_lo
	v_cmp_class_f32_e64 vcc_lo, v48, 0x260
	v_cndmask_b32_e32 v48, v49, v48, vcc_lo
	v_sub_f32_e32 v49, v48, v42
	v_fma_f32 v48, -v45, v48, 1.0
	v_cmp_gt_f32_e32 vcc_lo, 0, v49
	v_cmp_lt_f32_e64 s10, v49, v43
	v_cndmask_b32_e64 v50, 0, 0x42980000, vcc_lo
	v_fmac_f32_e32 v84, v48, v50
	v_fma_f32 v48, -v44, v49, 1.0
	v_cndmask_b32_e64 v50, 0, 1.0, s10
	v_cmp_lt_f32_e64 s10, v49, v7
	v_cndmask_b32_e64 v48, v48, 1.0, vcc_lo
	s_and_b32 s10, s9, s10
	v_mul_f32_e32 v48, v50, v48
	v_sub_f32_e32 v50, v119, v6
	v_mul_f32_e32 v48, v47, v48
	v_cndmask_b32_e64 v48, v48, -|v48|, s27
	v_fmac_f32_e32 v84, 0x42340000, v48
	v_fma_f32 v48, -v46, v49, 1.0
	v_cndmask_b32_e64 v49, 0, 1.0, s10
	v_cndmask_b32_e64 v48, v48, 1.0, vcc_lo
	v_mul_f32_e32 v49, v0, v49
	v_fmac_f32_e32 v84, v48, v49
	v_sub_f32_e32 v49, v118, v5
	v_sub_f32_e32 v48, v117, v4
	v_mul_f32_e32 v49, v49, v49
	v_fmac_f32_e32 v49, v48, v48
	v_fmac_f32_e32 v49, v50, v50
	v_cmp_gt_f32_e32 vcc_lo, 0xf800000, v49
	v_mul_f32_e32 v48, 0x4f800000, v49
	v_cndmask_b32_e32 v48, v49, v48, vcc_lo
	v_sqrt_f32_e32 v49, v48
	v_add_nc_u32_e32 v50, -1, v49
	v_fma_f32 v51, -v50, v49, v48
	v_cmp_ge_f32_e64 s10, 0, v51
	v_add_nc_u32_e32 v51, 1, v49
	v_cndmask_b32_e64 v50, v49, v50, s10
	v_fma_f32 v49, -v51, v49, v48
	v_cmp_lt_f32_e64 s10, 0, v49
	v_cndmask_b32_e64 v49, v50, v51, s10
	v_mul_f32_e32 v50, 0x37800000, v49
	v_cndmask_b32_e32 v49, v49, v50, vcc_lo
	v_cmp_class_f32_e64 vcc_lo, v48, 0x260
	v_cndmask_b32_e32 v48, v49, v48, vcc_lo
	v_sub_f32_e32 v49, v48, v42
	v_fma_f32 v48, -v45, v48, 1.0
	v_cmp_gt_f32_e32 vcc_lo, 0, v49
	v_cmp_lt_f32_e64 s10, v49, v43
	v_cndmask_b32_e64 v50, 0, 0x42980000, vcc_lo
	v_fmac_f32_e32 v81, v48, v50
	v_fma_f32 v48, -v44, v49, 1.0
	v_cndmask_b32_e64 v50, 0, 1.0, s10
	v_cmp_lt_f32_e64 s10, v49, v7
	v_cndmask_b32_e64 v48, v48, 1.0, vcc_lo
	s_and_b32 s10, s9, s10
	v_mul_f32_e32 v48, v50, v48
	v_sub_f32_e32 v50, v122, v6
	v_mul_f32_e32 v48, v47, v48
	v_cndmask_b32_e64 v48, v48, -|v48|, s27
	v_fmac_f32_e32 v81, 0x42340000, v48
	v_fma_f32 v48, -v46, v49, 1.0
	v_cndmask_b32_e64 v49, 0, 1.0, s10
	v_cndmask_b32_e64 v48, v48, 1.0, vcc_lo
	v_mul_f32_e32 v49, v0, v49
	v_fmac_f32_e32 v81, v48, v49
	v_sub_f32_e32 v49, v121, v5
	v_sub_f32_e32 v48, v120, v4
	v_mul_f32_e32 v49, v49, v49
	;; [unrolled: 42-line block ×13, first 2 shown]
	v_fmac_f32_e32 v49, v48, v48
	v_fmac_f32_e32 v49, v50, v50
	v_cmp_gt_f32_e32 vcc_lo, 0xf800000, v49
	v_mul_f32_e32 v48, 0x4f800000, v49
	v_cndmask_b32_e32 v48, v49, v48, vcc_lo
	v_sqrt_f32_e32 v49, v48
	v_add_nc_u32_e32 v50, -1, v49
	v_fma_f32 v51, -v50, v49, v48
	v_cmp_ge_f32_e64 s10, 0, v51
	v_add_nc_u32_e32 v51, 1, v49
	v_cndmask_b32_e64 v50, v49, v50, s10
	v_fma_f32 v49, -v51, v49, v48
	v_cmp_lt_f32_e64 s10, 0, v49
	v_cndmask_b32_e64 v49, v50, v51, s10
	v_mul_f32_e32 v50, 0x37800000, v49
	v_cndmask_b32_e32 v49, v49, v50, vcc_lo
	v_cmp_class_f32_e64 vcc_lo, v48, 0x260
	v_cndmask_b32_e32 v48, v49, v48, vcc_lo
	v_sub_f32_e32 v49, v48, v42
	v_fma_f32 v48, -v45, v48, 1.0
	v_cmp_gt_f32_e32 vcc_lo, 0, v49
	v_cmp_lt_f32_e64 s10, v49, v43
	v_cndmask_b32_e64 v50, 0, 0x42980000, vcc_lo
	v_fmac_f32_e32 v67, v48, v50
	v_fma_f32 v48, -v44, v49, 1.0
	v_cndmask_b32_e64 v50, 0, 1.0, s10
	v_cmp_lt_f32_e64 s10, v49, v7
	v_cndmask_b32_e64 v48, v48, 1.0, vcc_lo
	s_and_b32 s10, s9, s10
	v_mul_f32_e32 v48, v50, v48
	v_sub_f32_e32 v50, v38, v6
	v_mul_f32_e32 v48, v47, v48
	v_cndmask_b32_e64 v48, v48, -|v48|, s27
	v_fmac_f32_e32 v67, 0x42340000, v48
	v_fma_f32 v48, -v46, v49, 1.0
	v_cndmask_b32_e64 v49, 0, 1.0, s10
	v_cndmask_b32_e64 v48, v48, 1.0, vcc_lo
	v_mul_f32_e32 v49, v0, v49
	v_fmac_f32_e32 v67, v48, v49
	v_sub_f32_e32 v49, v37, v5
	v_sub_f32_e32 v48, v36, v4
	v_sub_f32_e32 v5, v40, v5
	v_mul_f32_e32 v49, v49, v49
	v_mul_f32_e32 v5, v5, v5
	v_fmac_f32_e32 v49, v48, v48
	v_fmac_f32_e32 v49, v50, v50
	v_cmp_gt_f32_e32 vcc_lo, 0xf800000, v49
	v_mul_f32_e32 v48, 0x4f800000, v49
	v_cndmask_b32_e32 v48, v49, v48, vcc_lo
	v_sqrt_f32_e32 v49, v48
	v_add_nc_u32_e32 v50, -1, v49
	v_fma_f32 v51, -v50, v49, v48
	v_cmp_ge_f32_e64 s10, 0, v51
	v_add_nc_u32_e32 v51, 1, v49
	v_cndmask_b32_e64 v50, v49, v50, s10
	v_fma_f32 v49, -v51, v49, v48
	v_cmp_lt_f32_e64 s10, 0, v49
	v_cndmask_b32_e64 v49, v50, v51, s10
	v_mul_f32_e32 v50, 0x37800000, v49
	v_cndmask_b32_e32 v49, v49, v50, vcc_lo
	v_cmp_class_f32_e64 vcc_lo, v48, 0x260
	v_cndmask_b32_e32 v48, v49, v48, vcc_lo
	v_sub_f32_e32 v49, v48, v42
	v_fma_f32 v48, -v45, v48, 1.0
	v_cmp_gt_f32_e32 vcc_lo, 0, v49
	v_cmp_lt_f32_e64 s10, v49, v43
	v_cndmask_b32_e64 v50, 0, 0x42980000, vcc_lo
	v_fmac_f32_e32 v65, v48, v50
	v_fma_f32 v48, -v44, v49, 1.0
	v_cndmask_b32_e64 v50, 0, 1.0, s10
	v_cmp_lt_f32_e64 s10, v49, v7
	v_cndmask_b32_e64 v48, v48, 1.0, vcc_lo
	s_and_b32 s10, s9, s10
	v_mul_f32_e32 v48, v50, v48
	v_mul_f32_e32 v48, v47, v48
	v_cndmask_b32_e64 v48, v48, -|v48|, s27
	v_fmac_f32_e32 v65, 0x42340000, v48
	v_fma_f32 v48, -v46, v49, 1.0
	v_cndmask_b32_e64 v49, 0, 1.0, s10
	v_cndmask_b32_e64 v48, v48, 1.0, vcc_lo
	v_mul_f32_e32 v49, v0, v49
	v_fmac_f32_e32 v65, v48, v49
	v_sub_f32_e32 v48, v39, v4
	v_sub_f32_e32 v4, v41, v6
	v_fmac_f32_e32 v5, v48, v48
	v_fmac_f32_e32 v5, v4, v4
	v_cmp_gt_f32_e32 vcc_lo, 0xf800000, v5
	v_mul_f32_e32 v4, 0x4f800000, v5
	v_cndmask_b32_e32 v4, v5, v4, vcc_lo
	v_sqrt_f32_e32 v5, v4
	v_add_nc_u32_e32 v6, -1, v5
	v_fma_f32 v48, -v6, v5, v4
	v_cmp_ge_f32_e64 s10, 0, v48
	v_add_nc_u32_e32 v48, 1, v5
	v_cndmask_b32_e64 v6, v5, v6, s10
	v_fma_f32 v5, -v48, v5, v4
	v_cmp_lt_f32_e64 s10, 0, v5
	v_cndmask_b32_e64 v5, v6, v48, s10
	v_mul_f32_e32 v6, 0x37800000, v5
	v_cndmask_b32_e32 v5, v5, v6, vcc_lo
	v_cmp_class_f32_e64 vcc_lo, v4, 0x260
	v_cndmask_b32_e32 v4, v5, v4, vcc_lo
	v_sub_f32_e32 v5, v4, v42
	v_fma_f32 v4, -v45, v4, 1.0
	v_cmp_gt_f32_e32 vcc_lo, 0, v5
	v_cmp_lt_f32_e64 s10, v5, v43
	v_cndmask_b32_e64 v6, 0, 0x42980000, vcc_lo
	v_fmac_f32_e32 v58, v4, v6
	v_fma_f32 v4, -v44, v5, 1.0
	v_cndmask_b32_e64 v6, 0, 1.0, s10
	v_cmp_lt_f32_e64 s10, v5, v7
	v_cndmask_b32_e64 v4, v4, 1.0, vcc_lo
	s_and_b32 s9, s9, s10
	s_add_u32 s22, s22, 16
	s_addc_u32 s23, s23, 0
	v_mul_f32_e32 v4, v6, v4
	s_add_i32 s26, s26, -1
	s_cmp_lg_u32 s26, 0
	v_mul_f32_e32 v4, v47, v4
	v_cndmask_b32_e64 v4, v4, -|v4|, s27
	v_fmac_f32_e32 v58, 0x42340000, v4
	v_fma_f32 v4, -v46, v5, 1.0
	v_cndmask_b32_e64 v5, 0, 1.0, s9
	v_cndmask_b32_e64 v4, v4, 1.0, vcc_lo
	v_mul_f32_e32 v0, v0, v5
	v_fmac_f32_e32 v58, v4, v0
	s_cbranch_scc1 .LBB4_28
; %bb.29:                               ;   in Loop: Header=BB4_27 Depth=1
	s_add_i32 s20, s20, 1
	s_cmp_lg_u32 s20, s25
	s_cbranch_scc1 .LBB4_27
; %bb.30:
	buffer_store_dword v84, off, s[0:3], 0
	buffer_store_dword v81, off, s[0:3], 0 offset:4
	buffer_store_dword v78, off, s[0:3], 0 offset:8
	buffer_store_dword v76, off, s[0:3], 0 offset:12
	buffer_store_dword v77, off, s[0:3], 0 offset:16
	buffer_store_dword v75, off, s[0:3], 0 offset:20
	buffer_store_dword v74, off, s[0:3], 0 offset:24
	buffer_store_dword v73, off, s[0:3], 0 offset:28
	buffer_store_dword v72, off, s[0:3], 0 offset:32
	buffer_store_dword v71, off, s[0:3], 0 offset:36
	buffer_store_dword v70, off, s[0:3], 0 offset:40
	buffer_store_dword v69, off, s[0:3], 0 offset:44
	buffer_store_dword v68, off, s[0:3], 0 offset:48
	buffer_store_dword v67, off, s[0:3], 0 offset:52
	buffer_store_dword v65, off, s[0:3], 0 offset:56
	buffer_store_dword v58, off, s[0:3], 0 offset:60
	s_and_saveexec_b32 s4, s6
	s_cbranch_execz .LBB4_32
; %bb.31:
	s_clause 0x1
	buffer_load_dword v0, off, s[0:3], 0 offset:1424
	buffer_load_dword v1, off, s[0:3], 0 offset:1428
	v_mov_b32_e32 v15, 0
	v_mul_f32_e32 v6, 0.5, v84
	v_mul_f32_e32 v7, 0.5, v81
	;; [unrolled: 1-line block ×8, first 2 shown]
	s_waitcnt vmcnt(1)
	v_mov_b32_e32 v14, v0
	s_waitcnt vmcnt(0)
	v_lshlrev_b64 v[0:1], 2, v[14:15]
	v_add_nc_u32_e32 v14, s11, v14
	v_lshlrev_b64 v[2:3], 2, v[14:15]
	v_add_nc_u32_e32 v14, s11, v14
	v_add_co_u32 v0, vcc_lo, s16, v0
	v_add_co_ci_u32_e64 v1, null, s17, v1, vcc_lo
	v_lshlrev_b64 v[4:5], 2, v[14:15]
	v_add_nc_u32_e32 v14, s11, v14
	v_add_co_u32 v2, vcc_lo, s16, v2
	v_add_co_ci_u32_e64 v3, null, s17, v3, vcc_lo
	global_store_dword v[0:1], v6, off
	v_lshlrev_b64 v[0:1], 2, v[14:15]
	v_add_nc_u32_e32 v14, s11, v14
	global_store_dword v[2:3], v7, off
	v_add_co_u32 v2, vcc_lo, s16, v4
	v_add_co_ci_u32_e64 v3, null, s17, v5, vcc_lo
	v_lshlrev_b64 v[4:5], 2, v[14:15]
	v_add_nc_u32_e32 v14, s11, v14
	v_add_co_u32 v0, vcc_lo, s16, v0
	v_add_co_ci_u32_e64 v1, null, s17, v1, vcc_lo
	v_add_co_u32 v4, vcc_lo, s16, v4
	v_lshlrev_b64 v[6:7], 2, v[14:15]
	v_add_nc_u32_e32 v14, s11, v14
	v_add_co_ci_u32_e64 v5, null, s17, v5, vcc_lo
	global_store_dword v[2:3], v8, off
	global_store_dword v[0:1], v9, off
	;; [unrolled: 1-line block ×3, first 2 shown]
	v_lshlrev_b64 v[0:1], 2, v[14:15]
	v_add_nc_u32_e32 v14, s11, v14
	v_add_co_u32 v2, vcc_lo, s16, v6
	v_add_co_ci_u32_e64 v3, null, s17, v7, vcc_lo
	v_lshlrev_b64 v[4:5], 2, v[14:15]
	v_add_nc_u32_e32 v14, s11, v14
	v_add_co_u32 v0, vcc_lo, s16, v0
	v_mul_f32_e32 v8, 0.5, v75
	v_add_co_ci_u32_e64 v1, null, s17, v1, vcc_lo
	v_add_co_u32 v4, vcc_lo, s16, v4
	v_lshlrev_b64 v[6:7], 2, v[14:15]
	v_add_nc_u32_e32 v14, s11, v14
	v_mul_f32_e32 v9, 0.5, v74
	v_mul_f32_e32 v10, 0.5, v73
	v_add_co_ci_u32_e64 v5, null, s17, v5, vcc_lo
	global_store_dword v[2:3], v8, off
	global_store_dword v[0:1], v9, off
	;; [unrolled: 1-line block ×3, first 2 shown]
	v_lshlrev_b64 v[0:1], 2, v[14:15]
	v_add_nc_u32_e32 v14, s11, v14
	v_add_co_u32 v2, vcc_lo, s16, v6
	v_add_co_ci_u32_e64 v3, null, s17, v7, vcc_lo
	v_lshlrev_b64 v[4:5], 2, v[14:15]
	v_add_nc_u32_e32 v14, s11, v14
	v_add_co_u32 v0, vcc_lo, s16, v0
	v_mul_f32_e32 v8, 0.5, v72
	v_add_co_ci_u32_e64 v1, null, s17, v1, vcc_lo
	v_add_co_u32 v4, vcc_lo, s16, v4
	v_lshlrev_b64 v[6:7], 2, v[14:15]
	v_add_nc_u32_e32 v14, s11, v14
	v_mul_f32_e32 v9, 0.5, v71
	v_mul_f32_e32 v10, 0.5, v70
	v_add_co_ci_u32_e64 v5, null, s17, v5, vcc_lo
	global_store_dword v[2:3], v8, off
	global_store_dword v[0:1], v9, off
	;; [unrolled: 1-line block ×3, first 2 shown]
	v_lshlrev_b64 v[0:1], 2, v[14:15]
	v_add_nc_u32_e32 v14, s11, v14
	v_add_co_u32 v2, vcc_lo, s16, v6
	v_add_co_ci_u32_e64 v3, null, s17, v7, vcc_lo
	v_lshlrev_b64 v[4:5], 2, v[14:15]
	v_add_nc_u32_e32 v14, s11, v14
	v_add_co_u32 v0, vcc_lo, s16, v0
	v_add_co_ci_u32_e64 v1, null, s17, v1, vcc_lo
	v_lshlrev_b64 v[6:7], 2, v[14:15]
	v_add_nc_u32_e32 v14, s11, v14
	v_add_co_u32 v4, vcc_lo, s16, v4
	v_mul_f32_e32 v10, 0.5, v69
	v_add_co_ci_u32_e64 v5, null, s17, v5, vcc_lo
	v_lshlrev_b64 v[8:9], 2, v[14:15]
	v_add_co_u32 v6, vcc_lo, s16, v6
	v_add_co_ci_u32_e64 v7, null, s17, v7, vcc_lo
	v_mul_f32_e32 v14, 0.5, v58
	v_add_co_u32 v8, vcc_lo, s16, v8
	v_add_co_ci_u32_e64 v9, null, s17, v9, vcc_lo
	global_store_dword v[2:3], v10, off
	global_store_dword v[0:1], v11, off
	global_store_dword v[4:5], v12, off
	global_store_dword v[6:7], v13, off
	global_store_dword v[8:9], v14, off
.LBB4_32:
	s_endpgm
	.section	.rodata,"a",@progbits
	.p2align	6, 0x0
	.amdhsa_kernel _ZL11fasten_mainILm16EEviiPK4AtomS2_PKfS4_S4_S4_S4_S4_PfPK8FFParamsi
		.amdhsa_group_segment_fixed_size 0
		.amdhsa_private_segment_fixed_size 1440
		.amdhsa_kernarg_size 352
		.amdhsa_user_sgpr_count 6
		.amdhsa_user_sgpr_private_segment_buffer 1
		.amdhsa_user_sgpr_dispatch_ptr 0
		.amdhsa_user_sgpr_queue_ptr 0
		.amdhsa_user_sgpr_kernarg_segment_ptr 1
		.amdhsa_user_sgpr_dispatch_id 0
		.amdhsa_user_sgpr_flat_scratch_init 0
		.amdhsa_user_sgpr_private_segment_size 0
		.amdhsa_wavefront_size32 1
		.amdhsa_uses_dynamic_stack 0
		.amdhsa_system_sgpr_private_segment_wavefront_offset 1
		.amdhsa_system_sgpr_workgroup_id_x 1
		.amdhsa_system_sgpr_workgroup_id_y 0
		.amdhsa_system_sgpr_workgroup_id_z 0
		.amdhsa_system_sgpr_workgroup_info 0
		.amdhsa_system_vgpr_workitem_id 0
		.amdhsa_next_free_vgpr 128
		.amdhsa_next_free_sgpr 35
		.amdhsa_reserve_vcc 1
		.amdhsa_reserve_flat_scratch 0
		.amdhsa_float_round_mode_32 0
		.amdhsa_float_round_mode_16_64 0
		.amdhsa_float_denorm_mode_32 3
		.amdhsa_float_denorm_mode_16_64 3
		.amdhsa_dx10_clamp 1
		.amdhsa_ieee_mode 1
		.amdhsa_fp16_overflow 0
		.amdhsa_workgroup_processor_mode 1
		.amdhsa_memory_ordered 1
		.amdhsa_forward_progress 1
		.amdhsa_shared_vgpr_count 0
		.amdhsa_exception_fp_ieee_invalid_op 0
		.amdhsa_exception_fp_denorm_src 0
		.amdhsa_exception_fp_ieee_div_zero 0
		.amdhsa_exception_fp_ieee_overflow 0
		.amdhsa_exception_fp_ieee_underflow 0
		.amdhsa_exception_fp_ieee_inexact 0
		.amdhsa_exception_int_div_zero 0
	.end_amdhsa_kernel
	.section	.text._ZL11fasten_mainILm16EEviiPK4AtomS2_PKfS4_S4_S4_S4_S4_PfPK8FFParamsi,"axG",@progbits,_ZL11fasten_mainILm16EEviiPK4AtomS2_PKfS4_S4_S4_S4_S4_PfPK8FFParamsi,comdat
.Lfunc_end4:
	.size	_ZL11fasten_mainILm16EEviiPK4AtomS2_PKfS4_S4_S4_S4_S4_PfPK8FFParamsi, .Lfunc_end4-_ZL11fasten_mainILm16EEviiPK4AtomS2_PKfS4_S4_S4_S4_S4_PfPK8FFParamsi
                                        ; -- End function
	.set _ZL11fasten_mainILm16EEviiPK4AtomS2_PKfS4_S4_S4_S4_S4_PfPK8FFParamsi.num_vgpr, 128
	.set _ZL11fasten_mainILm16EEviiPK4AtomS2_PKfS4_S4_S4_S4_S4_PfPK8FFParamsi.num_agpr, 0
	.set _ZL11fasten_mainILm16EEviiPK4AtomS2_PKfS4_S4_S4_S4_S4_PfPK8FFParamsi.numbered_sgpr, 35
	.set _ZL11fasten_mainILm16EEviiPK4AtomS2_PKfS4_S4_S4_S4_S4_PfPK8FFParamsi.num_named_barrier, 0
	.set _ZL11fasten_mainILm16EEviiPK4AtomS2_PKfS4_S4_S4_S4_S4_PfPK8FFParamsi.private_seg_size, 1440
	.set _ZL11fasten_mainILm16EEviiPK4AtomS2_PKfS4_S4_S4_S4_S4_PfPK8FFParamsi.uses_vcc, 1
	.set _ZL11fasten_mainILm16EEviiPK4AtomS2_PKfS4_S4_S4_S4_S4_PfPK8FFParamsi.uses_flat_scratch, 0
	.set _ZL11fasten_mainILm16EEviiPK4AtomS2_PKfS4_S4_S4_S4_S4_PfPK8FFParamsi.has_dyn_sized_stack, 0
	.set _ZL11fasten_mainILm16EEviiPK4AtomS2_PKfS4_S4_S4_S4_S4_PfPK8FFParamsi.has_recursion, 0
	.set _ZL11fasten_mainILm16EEviiPK4AtomS2_PKfS4_S4_S4_S4_S4_PfPK8FFParamsi.has_indirect_call, 0
	.section	.AMDGPU.csdata,"",@progbits
; Kernel info:
; codeLenInByte = 16492
; TotalNumSgprs: 37
; NumVgprs: 128
; ScratchSize: 1440
; MemoryBound: 0
; FloatMode: 240
; IeeeMode: 1
; LDSByteSize: 0 bytes/workgroup (compile time only)
; SGPRBlocks: 0
; VGPRBlocks: 15
; NumSGPRsForWavesPerEU: 37
; NumVGPRsForWavesPerEU: 128
; Occupancy: 8
; WaveLimiterHint : 1
; COMPUTE_PGM_RSRC2:SCRATCH_EN: 1
; COMPUTE_PGM_RSRC2:USER_SGPR: 6
; COMPUTE_PGM_RSRC2:TRAP_HANDLER: 0
; COMPUTE_PGM_RSRC2:TGID_X_EN: 1
; COMPUTE_PGM_RSRC2:TGID_Y_EN: 0
; COMPUTE_PGM_RSRC2:TGID_Z_EN: 0
; COMPUTE_PGM_RSRC2:TIDIG_COMP_CNT: 0
	.section	.text._ZL11fasten_mainILm32EEviiPK4AtomS2_PKfS4_S4_S4_S4_S4_PfPK8FFParamsi,"axG",@progbits,_ZL11fasten_mainILm32EEviiPK4AtomS2_PKfS4_S4_S4_S4_S4_PfPK8FFParamsi,comdat
	.globl	_ZL11fasten_mainILm32EEviiPK4AtomS2_PKfS4_S4_S4_S4_S4_PfPK8FFParamsi ; -- Begin function _ZL11fasten_mainILm32EEviiPK4AtomS2_PKfS4_S4_S4_S4_S4_PfPK8FFParamsi
	.p2align	8
	.type	_ZL11fasten_mainILm32EEviiPK4AtomS2_PKfS4_S4_S4_S4_S4_PfPK8FFParamsi,@function
_ZL11fasten_mainILm32EEviiPK4AtomS2_PKfS4_S4_S4_S4_S4_PfPK8FFParamsi: ; @_ZL11fasten_mainILm32EEviiPK4AtomS2_PKfS4_S4_S4_S4_S4_PfPK8FFParamsi
; %bb.0:
	s_add_u32 s0, s0, s7
	s_clause 0x1
	s_load_dword s7, s[4:5], 0x6c
	s_load_dword s8, s[4:5], 0x58
	s_addc_u32 s1, s1, 0
	s_load_dwordx16 s[12:27], s[4:5], 0x8
	v_mov_b32_e32 v3, 0
	s_mov_b32 s9, 0
	s_movk_i32 s28, 0x80
	s_mov_b32 s29, 0x7fffff
	s_mov_b32 s30, 0xb94c1982
	s_mov_b32 s31, 0x37d75334
	s_waitcnt lgkmcnt(0)
	s_and_b32 s11, s7, 0xffff
	s_sub_i32 s7, s8, 32
	s_mul_i32 s6, s6, s11
	s_lshl_b32 s10, s11, 2
	v_lshl_add_u32 v1, s6, 5, v0
	v_mov_b32_e32 v0, v1
	v_cmp_gt_i32_e64 s6, s8, v1
	buffer_store_dword v0, off, s[0:3], 0 offset:2940 ; 4-byte Folded Spill
	buffer_store_dword v1, off, s[0:3], 0 offset:2944 ; 4-byte Folded Spill
	v_cndmask_b32_e64 v0, s7, v1, s6
	v_ashrrev_i32_e32 v1, 31, v0
	v_lshlrev_b64 v[0:1], 2, v[0:1]
	s_branch .LBB5_2
.LBB5_1:                                ;   in Loop: Header=BB5_2 Depth=1
	s_or_b32 exec_lo, exec_lo, s7
	v_add_co_u32 v20, vcc_lo, s22, v0
	v_add_co_ci_u32_e64 v21, null, s23, v1, vcc_lo
	v_add_co_u32 v23, vcc_lo, s24, v0
	v_add_co_ci_u32_e64 v24, null, s25, v1, vcc_lo
	;; [unrolled: 2-line block ×3, first 2 shown]
	global_load_dword v20, v[20:21], off
	global_load_dword v21, v[23:24], off
	;; [unrolled: 1-line block ×3, first 2 shown]
	v_mul_f32_e32 v24, v18, v18
	v_mul_f32_e32 v26, v14, v14
	;; [unrolled: 1-line block ×3, first 2 shown]
	v_and_b32_e32 v25, 1, v19
	v_mul_f32_e32 v30, v8, v8
	v_fmaak_f32 v38, s30, v24, 0x3c0881c4
	v_fmaak_f32 v39, s31, v24, 0xbab64f3b
	;; [unrolled: 1-line block ×10, first 2 shown]
	v_mul_f32_e32 v38, v24, v38
	v_fmaak_f32 v39, v24, v39, 0xbf000004
	v_and_b32_e32 v27, 1, v16
	v_mul_f32_e32 v32, v6, v6
	v_fmaak_f32 v44, s30, v30, 0x3c0881c4
	v_fmaak_f32 v45, s31, v30, 0xbab64f3b
	;; [unrolled: 1-line block ×4, first 2 shown]
	v_mul_f32_e32 v40, v26, v40
	v_fmaak_f32 v41, v26, v41, 0xbf000004
	v_fmac_f32_e32 v18, v18, v38
	v_fma_f32 v24, v24, v39, 1.0
	v_cmp_eq_u32_e32 vcc_lo, 0, v25
	v_and_b32_e32 v29, 1, v13
	v_mul_f32_e32 v34, v2, v2
	v_fmaak_f32 v46, s30, v32, 0x3c0881c4
	v_fmaak_f32 v47, s31, v32, 0xbab64f3b
	;; [unrolled: 1-line block ×4, first 2 shown]
	v_mul_f32_e32 v42, v28, v42
	v_fmaak_f32 v43, v28, v43, 0xbf000004
	v_fmac_f32_e32 v14, v14, v40
	v_fma_f32 v26, v26, v41, 1.0
	v_cndmask_b32_e32 v18, v24, v18, vcc_lo
	v_cmp_eq_u32_e32 vcc_lo, 0, v27
	v_and_b32_e32 v31, 1, v10
	v_fmaak_f32 v48, s30, v34, 0x3c0881c4
	v_fmaak_f32 v49, s31, v34, 0xbab64f3b
	;; [unrolled: 1-line block ×4, first 2 shown]
	v_mul_f32_e32 v44, v30, v44
	v_fmaak_f32 v45, v30, v45, 0xbf000004
	v_fmac_f32_e32 v12, v12, v42
	v_fma_f32 v28, v28, v43, 1.0
	v_cndmask_b32_e64 v14, -v14, v26, vcc_lo
	v_cmp_eq_u32_e32 vcc_lo, 0, v29
	v_and_b32_e32 v33, 1, v7
	v_fmaak_f32 v48, v34, v48, 0xbe2aaa9d
	v_fmaak_f32 v49, v34, v49, 0x3d2aabf7
	v_mul_f32_e32 v46, v32, v46
	v_fmaak_f32 v47, v32, v47, 0xbf000004
	v_fmac_f32_e32 v8, v8, v44
	v_fma_f32 v30, v30, v45, 1.0
	v_cndmask_b32_e32 v12, v28, v12, vcc_lo
	v_cmp_eq_u32_e32 vcc_lo, 0, v31
	v_and_b32_e32 v35, 1, v22
	v_mul_f32_e32 v48, v34, v48
	v_fmaak_f32 v49, v34, v49, 0xbf000004
	v_fmac_f32_e32 v6, v6, v46
	v_fma_f32 v32, v32, v47, 1.0
	v_cndmask_b32_e64 v8, -v8, v30, vcc_lo
	v_cmp_eq_u32_e32 vcc_lo, 0, v33
	v_lshlrev_b32_e32 v19, 30, v19
	v_lshlrev_b32_e32 v13, 30, v13
	;; [unrolled: 1-line block ×5, first 2 shown]
	v_fmac_f32_e32 v2, v2, v48
	v_fma_f32 v34, v34, v49, 1.0
	v_cndmask_b32_e32 v6, v32, v6, vcc_lo
	v_cmp_eq_u32_e32 vcc_lo, 0, v35
	v_lshlrev_b32_e32 v16, 30, v16
	v_xor_b32_e32 v17, v17, v15
	v_xor_b32_e32 v11, v11, v9
	;; [unrolled: 1-line block ×3, first 2 shown]
	v_and_b32_e32 v19, 0x80000000, v19
	v_and_b32_e32 v13, 0x80000000, v13
	;; [unrolled: 1-line block ×5, first 2 shown]
	v_cndmask_b32_e64 v2, -v2, v34, vcc_lo
	v_and_b32_e32 v16, 0x80000000, v16
	v_xor3_b32 v17, v17, v19, v18
	v_cmp_class_f32_e64 vcc_lo, v9, 0x1f8
	v_xor3_b32 v9, v11, v13, v12
	v_xor_b32_e32 v8, v10, v8
	v_cmp_class_f32_e64 s7, v4, 0x1f8
	v_xor3_b32 v4, v5, v7, v6
	v_cmp_class_f32_e64 s8, v15, 0x1f8
	v_xor_b32_e32 v2, v22, v2
	v_xor_b32_e32 v14, v16, v14
	v_cndmask_b32_e32 v7, 0x7fc00000, v9, vcc_lo
	v_cndmask_b32_e64 v8, 0x7fc00000, v8, s7
	v_cndmask_b32_e64 v5, 0x7fc00000, v17, s8
	v_cndmask_b32_e64 v4, 0x7fc00000, v4, s7
	v_mov_b32_e32 v37, s9
	s_add_i32 s9, s9, 4
	s_add_u32 s16, s16, s10
	s_addc_u32 s17, s17, 0
	v_cndmask_b32_e64 v2, 0x7fc00000, v2, s8
	s_add_u32 s18, s18, s10
	v_cndmask_b32_e32 v6, 0x7fc00000, v14, vcc_lo
	s_addc_u32 s19, s19, 0
	v_mul_f32_e32 v10, v4, v7
	v_mul_f32_e32 v11, v8, v5
	;; [unrolled: 1-line block ×3, first 2 shown]
	s_add_u32 s20, s20, s10
	s_addc_u32 s21, s21, 0
	s_add_u32 s22, s22, s10
	v_mul_f32_e32 v14, v8, v2
	v_mov_b32_e32 v36, s28
	s_addc_u32 s23, s23, 0
	v_mul_f32_e32 v9, v6, v2
	v_mul_f32_e32 v15, v4, v2
	s_add_u32 s24, s24, s10
	v_mul_f32_e32 v13, v6, v5
	v_mul_f32_e32 v16, v4, v6
	;; [unrolled: 1-line block ×3, first 2 shown]
	v_fma_f32 v8, v10, v2, -v11
	v_mul_f32_e32 v2, v12, v2
	s_addc_u32 s25, s25, 0
	v_xor_b32_e32 v7, 0x80000000, v7
	s_add_u32 s26, s26, s10
	s_addc_u32 s27, s27, 0
	s_add_i32 s28, s28, 48
	v_fmac_f32_e32 v14, v10, v5
	s_cmpk_lg_i32 s9, 0x80
	buffer_store_dword v9, v36, s[0:3], 0 offen
	v_fma_f32 v9, v12, v5, -v15
	v_fmac_f32_e32 v2, v4, v5
	buffer_store_dword v13, v36, s[0:3], 0 offen offset:16
	buffer_store_dword v7, v36, s[0:3], 0 offen offset:32
	;; [unrolled: 1-line block ×8, first 2 shown]
	s_waitcnt vmcnt(2)
	buffer_store_dword v20, v36, s[0:3], 0 offen offset:12
	s_waitcnt vmcnt(1)
	buffer_store_dword v21, v36, s[0:3], 0 offen offset:28
	;; [unrolled: 2-line block ×3, first 2 shown]
	buffer_store_dword v3, v37, s[0:3], 0 offen
	s_cbranch_scc0 .LBB5_26
.LBB5_2:                                ; =>This Inner Loop Header: Depth=1
	v_add_co_u32 v4, vcc_lo, s16, v0
	v_add_co_ci_u32_e64 v5, null, s17, v1, vcc_lo
                                        ; implicit-def: $vgpr7
                                        ; implicit-def: $vgpr6
	global_load_dword v4, v[4:5], off
	s_waitcnt vmcnt(0)
	v_and_b32_e32 v5, 0x7fffffff, v4
	v_cmp_ngt_f32_e64 s33, 0x48000000, |v4|
	v_lshrrev_b32_e32 v2, 23, v5
	v_and_or_b32 v9, v5, s29, 0x800000
	v_add_nc_u32_e32 v11, 0xffffff88, v2
	s_and_saveexec_b32 s7, s33
	s_xor_b32 s34, exec_lo, s7
	s_cbranch_execz .LBB5_4
; %bb.3:                                ;   in Loop: Header=BB5_2 Depth=1
	v_mad_u64_u32 v[6:7], null, 0xfe5163ab, v9, 0
	v_cmp_lt_u32_e32 vcc_lo, 63, v11
	v_mov_b32_e32 v2, v7
	v_mad_u64_u32 v[7:8], null, 0x3c439041, v9, v[2:3]
	v_mov_b32_e32 v2, v8
	v_cndmask_b32_e64 v8, 0, 0xffffffc0, vcc_lo
	v_mad_u64_u32 v[12:13], null, 0xdb629599, v9, v[2:3]
	v_add_nc_u32_e32 v8, v8, v11
	v_cmp_lt_u32_e64 s7, 31, v8
	v_mov_b32_e32 v2, v13
	v_cndmask_b32_e32 v6, v12, v6, vcc_lo
	v_cndmask_b32_e64 v10, 0, 0xffffffe0, s7
	v_mad_u64_u32 v[13:14], null, 0xf534ddc0, v9, v[2:3]
	v_add_nc_u32_e32 v8, v10, v8
	v_mov_b32_e32 v2, v14
	v_cmp_lt_u32_e64 s8, 31, v8
	v_cndmask_b32_e32 v7, v13, v7, vcc_lo
	v_mad_u64_u32 v[14:15], null, 0xfc2757d1, v9, v[2:3]
	v_cndmask_b32_e64 v6, v7, v6, s7
	v_mov_b32_e32 v2, v15
	v_mad_u64_u32 v[15:16], null, 0x4e441529, v9, v[2:3]
	v_mov_b32_e32 v2, v16
	v_cndmask_b32_e32 v10, v15, v13, vcc_lo
	v_mad_u64_u32 v[16:17], null, 0xa2f9836e, v9, v[2:3]
	v_cndmask_b32_e64 v2, 0, 0xffffffe0, s8
	v_add_nc_u32_e32 v2, v2, v8
	v_cndmask_b32_e32 v16, v16, v14, vcc_lo
	v_cndmask_b32_e32 v15, v17, v15, vcc_lo
	;; [unrolled: 1-line block ×3, first 2 shown]
	v_cmp_eq_u32_e32 vcc_lo, 0, v2
	v_cndmask_b32_e64 v8, v16, v10, s7
	v_cndmask_b32_e64 v13, v15, v16, s7
	;; [unrolled: 1-line block ×3, first 2 shown]
	v_sub_nc_u32_e32 v15, 32, v2
	v_cndmask_b32_e64 v14, v14, v7, s7
	v_cndmask_b32_e64 v13, v13, v8, s8
	;; [unrolled: 1-line block ×5, first 2 shown]
	v_alignbit_b32 v16, v13, v8, v15
	v_alignbit_b32 v12, v8, v10, v15
	;; [unrolled: 1-line block ×3, first 2 shown]
	v_cndmask_b32_e32 v2, v16, v13, vcc_lo
	v_cndmask_b32_e32 v7, v12, v8, vcc_lo
	;; [unrolled: 1-line block ×3, first 2 shown]
	v_bfe_u32 v8, v2, 29, 1
	v_alignbit_b32 v12, v2, v7, 30
	v_alignbit_b32 v7, v7, v10, 30
	;; [unrolled: 1-line block ×3, first 2 shown]
	v_sub_nc_u32_e32 v13, 0, v8
	v_xor_b32_e32 v12, v12, v13
	v_xor_b32_e32 v7, v7, v13
	;; [unrolled: 1-line block ×3, first 2 shown]
	v_lshrrev_b32_e32 v13, 29, v2
	v_lshrrev_b32_e32 v2, 30, v2
	v_ffbh_u32_e32 v14, v12
	v_min_u32_e32 v14, 32, v14
	v_sub_nc_u32_e32 v10, 31, v14
	v_lshlrev_b32_e32 v15, 23, v14
	v_alignbit_b32 v12, v12, v7, v10
	v_alignbit_b32 v6, v7, v6, v10
	v_lshlrev_b32_e32 v7, 31, v13
	v_alignbit_b32 v10, v12, v6, 9
	v_or_b32_e32 v13, 0.5, v7
	v_lshrrev_b32_e32 v12, 9, v12
	v_or_b32_e32 v7, 0x33000000, v7
	v_ffbh_u32_e32 v16, v10
	v_sub_nc_u32_e32 v13, v13, v15
	v_min_u32_e32 v15, 32, v16
	v_or_b32_e32 v12, v12, v13
	v_not_b32_e32 v13, v15
	v_mul_f32_e32 v16, 0x3fc90fda, v12
	v_add_lshl_u32 v14, v15, v14, 23
	v_alignbit_b32 v6, v10, v6, v13
	v_fma_f32 v10, 0x3fc90fda, v12, -v16
	v_sub_nc_u32_e32 v7, v7, v14
	v_lshrrev_b32_e32 v6, 9, v6
	v_fmac_f32_e32 v10, 0x33a22168, v12
	v_or_b32_e32 v6, v7, v6
	v_add_nc_u32_e32 v7, v8, v2
	v_fmac_f32_e32 v10, 0x3fc90fda, v6
	v_add_f32_e32 v6, v16, v10
.LBB5_4:                                ;   in Loop: Header=BB5_2 Depth=1
	s_or_saveexec_b32 s7, s34
	v_mul_f32_e64 v2, 0x3f22f983, |v4|
	v_rndne_f32_e32 v2, v2
	s_xor_b32 exec_lo, exec_lo, s7
; %bb.5:                                ;   in Loop: Header=BB5_2 Depth=1
	v_fma_f32 v6, 0xbfc90fda, v2, |v4|
	v_cvt_i32_f32_e32 v7, v2
	v_fmac_f32_e32 v6, 0xb3a22168, v2
	v_fmac_f32_e32 v6, 0xa7c234c4, v2
; %bb.6:                                ;   in Loop: Header=BB5_2 Depth=1
	s_or_b32 exec_lo, exec_lo, s7
                                        ; implicit-def: $vgpr10
                                        ; implicit-def: $vgpr8
	s_and_saveexec_b32 s7, s33
	s_xor_b32 s33, exec_lo, s7
	s_cbranch_execz .LBB5_8
; %bb.7:                                ;   in Loop: Header=BB5_2 Depth=1
	v_mad_u64_u32 v[12:13], null, 0xfe5163ab, v9, 0
	v_cmp_lt_u32_e32 vcc_lo, 63, v11
	v_cndmask_b32_e64 v8, 0, 0xffffffc0, vcc_lo
	v_mov_b32_e32 v2, v13
	v_add_nc_u32_e32 v8, v8, v11
	v_mad_u64_u32 v[13:14], null, 0x3c439041, v9, v[2:3]
	v_cmp_lt_u32_e64 s7, 31, v8
	v_mov_b32_e32 v2, v14
	v_mad_u64_u32 v[14:15], null, 0xdb629599, v9, v[2:3]
	v_mov_b32_e32 v2, v15
	v_cndmask_b32_e32 v12, v14, v12, vcc_lo
	v_mad_u64_u32 v[15:16], null, 0xf534ddc0, v9, v[2:3]
	v_mov_b32_e32 v2, v16
	v_mad_u64_u32 v[16:17], null, 0xfc2757d1, v9, v[2:3]
	v_mov_b32_e32 v2, v17
	v_cndmask_b32_e64 v17, 0, 0xffffffe0, s7
	v_mad_u64_u32 v[10:11], null, 0x4e441529, v9, v[2:3]
	v_mov_b32_e32 v2, v11
	v_add_nc_u32_e32 v11, v17, v8
	v_cndmask_b32_e32 v17, v10, v15, vcc_lo
	v_mad_u64_u32 v[8:9], null, 0xa2f9836e, v9, v[2:3]
	v_cmp_lt_u32_e64 s8, 31, v11
	v_cndmask_b32_e64 v2, 0, 0xffffffe0, s8
	v_cndmask_b32_e32 v8, v8, v16, vcc_lo
	v_cndmask_b32_e32 v9, v9, v10, vcc_lo
	;; [unrolled: 1-line block ×3, first 2 shown]
	v_add_nc_u32_e32 v2, v2, v11
	v_cndmask_b32_e32 v11, v15, v13, vcc_lo
	v_cndmask_b32_e64 v13, v8, v17, s7
	v_cndmask_b32_e64 v8, v9, v8, s7
	;; [unrolled: 1-line block ×3, first 2 shown]
	v_sub_nc_u32_e32 v15, 32, v2
	v_cndmask_b32_e64 v10, v10, v11, s7
	v_cmp_eq_u32_e32 vcc_lo, 0, v2
	v_cndmask_b32_e64 v8, v8, v13, s8
	v_cndmask_b32_e64 v13, v13, v9, s8
	;; [unrolled: 1-line block ×3, first 2 shown]
	v_alignbit_b32 v16, v8, v13, v15
	v_alignbit_b32 v14, v13, v9, v15
	v_cndmask_b32_e32 v2, v16, v8, vcc_lo
	v_cndmask_b32_e64 v8, v11, v12, s7
	v_cndmask_b32_e32 v11, v14, v13, vcc_lo
	v_bfe_u32 v12, v2, 29, 1
	v_cndmask_b32_e64 v8, v10, v8, s8
	v_alignbit_b32 v10, v2, v11, 30
	v_sub_nc_u32_e32 v13, 0, v12
	v_alignbit_b32 v14, v9, v8, v15
	v_xor_b32_e32 v10, v10, v13
	v_cndmask_b32_e32 v9, v14, v9, vcc_lo
	v_ffbh_u32_e32 v14, v10
	v_alignbit_b32 v11, v11, v9, 30
	v_alignbit_b32 v8, v9, v8, 30
	v_min_u32_e32 v14, 32, v14
	v_xor_b32_e32 v9, v11, v13
	v_xor_b32_e32 v8, v8, v13
	v_lshrrev_b32_e32 v13, 29, v2
	v_lshrrev_b32_e32 v2, 30, v2
	v_sub_nc_u32_e32 v11, 31, v14
	v_lshlrev_b32_e32 v15, 23, v14
	v_alignbit_b32 v10, v10, v9, v11
	v_alignbit_b32 v8, v9, v8, v11
	v_lshlrev_b32_e32 v9, 31, v13
	v_alignbit_b32 v11, v10, v8, 9
	v_or_b32_e32 v13, 0.5, v9
	v_lshrrev_b32_e32 v10, 9, v10
	v_or_b32_e32 v9, 0x33000000, v9
	v_ffbh_u32_e32 v16, v11
	v_sub_nc_u32_e32 v13, v13, v15
	v_min_u32_e32 v15, 32, v16
	v_or_b32_e32 v10, v10, v13
	v_not_b32_e32 v13, v15
	v_mul_f32_e32 v16, 0x3fc90fda, v10
	v_add_lshl_u32 v14, v15, v14, 23
	v_alignbit_b32 v8, v11, v8, v13
	v_fma_f32 v11, 0x3fc90fda, v10, -v16
	v_sub_nc_u32_e32 v9, v9, v14
	v_lshrrev_b32_e32 v8, 9, v8
	v_fmac_f32_e32 v11, 0x33a22168, v10
	v_add_nc_u32_e32 v10, v12, v2
                                        ; implicit-def: $vgpr2
	v_or_b32_e32 v8, v9, v8
	v_fmac_f32_e32 v11, 0x3fc90fda, v8
	v_add_f32_e32 v8, v16, v11
	s_andn2_saveexec_b32 s7, s33
	s_cbranch_execnz .LBB5_9
	s_branch .LBB5_10
.LBB5_8:                                ;   in Loop: Header=BB5_2 Depth=1
	s_andn2_saveexec_b32 s7, s33
.LBB5_9:                                ;   in Loop: Header=BB5_2 Depth=1
	v_fma_f32 v8, 0xbfc90fda, v2, |v4|
	v_cvt_i32_f32_e32 v10, v2
	v_fmac_f32_e32 v8, 0xb3a22168, v2
	v_fmac_f32_e32 v8, 0xa7c234c4, v2
.LBB5_10:                               ;   in Loop: Header=BB5_2 Depth=1
	s_or_b32 exec_lo, exec_lo, s7
	v_add_co_u32 v11, vcc_lo, s18, v0
	v_add_co_ci_u32_e64 v12, null, s19, v1, vcc_lo
                                        ; implicit-def: $vgpr13
	global_load_dword v9, v[11:12], off
                                        ; implicit-def: $vgpr12
	s_waitcnt vmcnt(0)
	v_and_b32_e32 v11, 0x7fffffff, v9
	v_cmp_ngt_f32_e64 s33, 0x48000000, |v9|
	v_lshrrev_b32_e32 v2, 23, v11
	v_and_or_b32 v15, v11, s29, 0x800000
	v_add_nc_u32_e32 v17, 0xffffff88, v2
	s_and_saveexec_b32 s7, s33
	s_xor_b32 s34, exec_lo, s7
	s_cbranch_execz .LBB5_12
; %bb.11:                               ;   in Loop: Header=BB5_2 Depth=1
	v_mad_u64_u32 v[12:13], null, 0xfe5163ab, v15, 0
	v_cmp_lt_u32_e32 vcc_lo, 63, v17
	v_mov_b32_e32 v2, v13
	v_mad_u64_u32 v[13:14], null, 0x3c439041, v15, v[2:3]
	v_mov_b32_e32 v2, v14
	v_cndmask_b32_e64 v14, 0, 0xffffffc0, vcc_lo
	v_mad_u64_u32 v[18:19], null, 0xdb629599, v15, v[2:3]
	v_add_nc_u32_e32 v14, v14, v17
	v_cmp_lt_u32_e64 s7, 31, v14
	v_mov_b32_e32 v2, v19
	v_cndmask_b32_e32 v12, v18, v12, vcc_lo
	v_cndmask_b32_e64 v16, 0, 0xffffffe0, s7
	v_mad_u64_u32 v[19:20], null, 0xf534ddc0, v15, v[2:3]
	v_add_nc_u32_e32 v14, v16, v14
	v_mov_b32_e32 v2, v20
	v_cmp_lt_u32_e64 s8, 31, v14
	v_cndmask_b32_e32 v13, v19, v13, vcc_lo
	v_mad_u64_u32 v[20:21], null, 0xfc2757d1, v15, v[2:3]
	v_cndmask_b32_e64 v12, v13, v12, s7
	v_mov_b32_e32 v2, v21
	v_mad_u64_u32 v[21:22], null, 0x4e441529, v15, v[2:3]
	v_mov_b32_e32 v2, v22
	v_cndmask_b32_e32 v16, v21, v19, vcc_lo
	v_mad_u64_u32 v[22:23], null, 0xa2f9836e, v15, v[2:3]
	v_cndmask_b32_e64 v2, 0, 0xffffffe0, s8
	v_add_nc_u32_e32 v2, v2, v14
	v_cndmask_b32_e32 v22, v22, v20, vcc_lo
	v_cndmask_b32_e32 v21, v23, v21, vcc_lo
	;; [unrolled: 1-line block ×3, first 2 shown]
	v_cmp_eq_u32_e32 vcc_lo, 0, v2
	v_cndmask_b32_e64 v14, v22, v16, s7
	v_cndmask_b32_e64 v19, v21, v22, s7
	;; [unrolled: 1-line block ×3, first 2 shown]
	v_sub_nc_u32_e32 v21, 32, v2
	v_cndmask_b32_e64 v20, v20, v13, s7
	v_cndmask_b32_e64 v19, v19, v14, s8
	;; [unrolled: 1-line block ×5, first 2 shown]
	v_alignbit_b32 v22, v19, v14, v21
	v_alignbit_b32 v18, v14, v16, v21
	v_alignbit_b32 v20, v16, v12, v21
	v_cndmask_b32_e32 v2, v22, v19, vcc_lo
	v_cndmask_b32_e32 v13, v18, v14, vcc_lo
	;; [unrolled: 1-line block ×3, first 2 shown]
	v_bfe_u32 v14, v2, 29, 1
	v_alignbit_b32 v18, v2, v13, 30
	v_alignbit_b32 v13, v13, v16, 30
	;; [unrolled: 1-line block ×3, first 2 shown]
	v_sub_nc_u32_e32 v19, 0, v14
	v_xor_b32_e32 v18, v18, v19
	v_xor_b32_e32 v13, v13, v19
	;; [unrolled: 1-line block ×3, first 2 shown]
	v_lshrrev_b32_e32 v19, 29, v2
	v_lshrrev_b32_e32 v2, 30, v2
	v_ffbh_u32_e32 v20, v18
	v_min_u32_e32 v20, 32, v20
	v_sub_nc_u32_e32 v16, 31, v20
	v_lshlrev_b32_e32 v21, 23, v20
	v_alignbit_b32 v18, v18, v13, v16
	v_alignbit_b32 v12, v13, v12, v16
	v_lshlrev_b32_e32 v13, 31, v19
	v_alignbit_b32 v16, v18, v12, 9
	v_or_b32_e32 v19, 0.5, v13
	v_lshrrev_b32_e32 v18, 9, v18
	v_or_b32_e32 v13, 0x33000000, v13
	v_ffbh_u32_e32 v22, v16
	v_sub_nc_u32_e32 v19, v19, v21
	v_min_u32_e32 v21, 32, v22
	v_or_b32_e32 v18, v18, v19
	v_not_b32_e32 v19, v21
	v_mul_f32_e32 v22, 0x3fc90fda, v18
	v_add_lshl_u32 v20, v21, v20, 23
	v_alignbit_b32 v12, v16, v12, v19
	v_fma_f32 v16, 0x3fc90fda, v18, -v22
	v_sub_nc_u32_e32 v13, v13, v20
	v_lshrrev_b32_e32 v12, 9, v12
	v_fmac_f32_e32 v16, 0x33a22168, v18
	v_or_b32_e32 v12, v13, v12
	v_add_nc_u32_e32 v13, v14, v2
	v_fmac_f32_e32 v16, 0x3fc90fda, v12
	v_add_f32_e32 v12, v22, v16
.LBB5_12:                               ;   in Loop: Header=BB5_2 Depth=1
	s_or_saveexec_b32 s7, s34
	v_mul_f32_e64 v2, 0x3f22f983, |v9|
	v_rndne_f32_e32 v2, v2
	s_xor_b32 exec_lo, exec_lo, s7
; %bb.13:                               ;   in Loop: Header=BB5_2 Depth=1
	v_fma_f32 v12, 0xbfc90fda, v2, |v9|
	v_cvt_i32_f32_e32 v13, v2
	v_fmac_f32_e32 v12, 0xb3a22168, v2
	v_fmac_f32_e32 v12, 0xa7c234c4, v2
; %bb.14:                               ;   in Loop: Header=BB5_2 Depth=1
	s_or_b32 exec_lo, exec_lo, s7
                                        ; implicit-def: $vgpr16
                                        ; implicit-def: $vgpr14
	s_and_saveexec_b32 s7, s33
	s_xor_b32 s33, exec_lo, s7
	s_cbranch_execz .LBB5_16
; %bb.15:                               ;   in Loop: Header=BB5_2 Depth=1
	v_mad_u64_u32 v[18:19], null, 0xfe5163ab, v15, 0
	v_cmp_lt_u32_e32 vcc_lo, 63, v17
	v_cndmask_b32_e64 v14, 0, 0xffffffc0, vcc_lo
	v_mov_b32_e32 v2, v19
	v_add_nc_u32_e32 v14, v14, v17
	v_mad_u64_u32 v[19:20], null, 0x3c439041, v15, v[2:3]
	v_cmp_lt_u32_e64 s7, 31, v14
	v_mov_b32_e32 v2, v20
	v_mad_u64_u32 v[20:21], null, 0xdb629599, v15, v[2:3]
	v_mov_b32_e32 v2, v21
	v_cndmask_b32_e32 v18, v20, v18, vcc_lo
	v_mad_u64_u32 v[21:22], null, 0xf534ddc0, v15, v[2:3]
	v_mov_b32_e32 v2, v22
	v_mad_u64_u32 v[22:23], null, 0xfc2757d1, v15, v[2:3]
	v_mov_b32_e32 v2, v23
	v_cndmask_b32_e64 v23, 0, 0xffffffe0, s7
	v_mad_u64_u32 v[16:17], null, 0x4e441529, v15, v[2:3]
	v_mov_b32_e32 v2, v17
	v_add_nc_u32_e32 v17, v23, v14
	v_cndmask_b32_e32 v23, v16, v21, vcc_lo
	v_mad_u64_u32 v[14:15], null, 0xa2f9836e, v15, v[2:3]
	v_cmp_lt_u32_e64 s8, 31, v17
	v_cndmask_b32_e64 v2, 0, 0xffffffe0, s8
	v_cndmask_b32_e32 v14, v14, v22, vcc_lo
	v_cndmask_b32_e32 v15, v15, v16, vcc_lo
	;; [unrolled: 1-line block ×3, first 2 shown]
	v_add_nc_u32_e32 v2, v2, v17
	v_cndmask_b32_e32 v17, v21, v19, vcc_lo
	v_cndmask_b32_e64 v19, v14, v23, s7
	v_cndmask_b32_e64 v14, v15, v14, s7
	;; [unrolled: 1-line block ×3, first 2 shown]
	v_sub_nc_u32_e32 v21, 32, v2
	v_cndmask_b32_e64 v16, v16, v17, s7
	v_cmp_eq_u32_e32 vcc_lo, 0, v2
	v_cndmask_b32_e64 v14, v14, v19, s8
	v_cndmask_b32_e64 v19, v19, v15, s8
	;; [unrolled: 1-line block ×3, first 2 shown]
	v_alignbit_b32 v22, v14, v19, v21
	v_alignbit_b32 v20, v19, v15, v21
	v_cndmask_b32_e32 v2, v22, v14, vcc_lo
	v_cndmask_b32_e64 v14, v17, v18, s7
	v_cndmask_b32_e32 v17, v20, v19, vcc_lo
	v_bfe_u32 v18, v2, 29, 1
	v_cndmask_b32_e64 v14, v16, v14, s8
	v_alignbit_b32 v16, v2, v17, 30
	v_sub_nc_u32_e32 v19, 0, v18
	v_alignbit_b32 v20, v15, v14, v21
	v_xor_b32_e32 v16, v16, v19
	v_cndmask_b32_e32 v15, v20, v15, vcc_lo
	v_ffbh_u32_e32 v20, v16
	v_alignbit_b32 v17, v17, v15, 30
	v_alignbit_b32 v14, v15, v14, 30
	v_min_u32_e32 v20, 32, v20
	v_xor_b32_e32 v15, v17, v19
	v_xor_b32_e32 v14, v14, v19
	v_lshrrev_b32_e32 v19, 29, v2
	v_lshrrev_b32_e32 v2, 30, v2
	v_sub_nc_u32_e32 v17, 31, v20
	v_lshlrev_b32_e32 v21, 23, v20
	v_alignbit_b32 v16, v16, v15, v17
	v_alignbit_b32 v14, v15, v14, v17
	v_lshlrev_b32_e32 v15, 31, v19
	v_alignbit_b32 v17, v16, v14, 9
	v_or_b32_e32 v19, 0.5, v15
	v_lshrrev_b32_e32 v16, 9, v16
	v_or_b32_e32 v15, 0x33000000, v15
	v_ffbh_u32_e32 v22, v17
	v_sub_nc_u32_e32 v19, v19, v21
	v_min_u32_e32 v21, 32, v22
	v_or_b32_e32 v16, v16, v19
	v_not_b32_e32 v19, v21
	v_mul_f32_e32 v22, 0x3fc90fda, v16
	v_add_lshl_u32 v20, v21, v20, 23
	v_alignbit_b32 v14, v17, v14, v19
	v_fma_f32 v17, 0x3fc90fda, v16, -v22
	v_sub_nc_u32_e32 v15, v15, v20
	v_lshrrev_b32_e32 v14, 9, v14
	v_fmac_f32_e32 v17, 0x33a22168, v16
	v_add_nc_u32_e32 v16, v18, v2
                                        ; implicit-def: $vgpr2
	v_or_b32_e32 v14, v15, v14
	v_fmac_f32_e32 v17, 0x3fc90fda, v14
	v_add_f32_e32 v14, v22, v17
	s_andn2_saveexec_b32 s7, s33
	s_cbranch_execnz .LBB5_17
	s_branch .LBB5_18
.LBB5_16:                               ;   in Loop: Header=BB5_2 Depth=1
	s_andn2_saveexec_b32 s7, s33
.LBB5_17:                               ;   in Loop: Header=BB5_2 Depth=1
	v_fma_f32 v14, 0xbfc90fda, v2, |v9|
	v_cvt_i32_f32_e32 v16, v2
	v_fmac_f32_e32 v14, 0xb3a22168, v2
	v_fmac_f32_e32 v14, 0xa7c234c4, v2
.LBB5_18:                               ;   in Loop: Header=BB5_2 Depth=1
	s_or_b32 exec_lo, exec_lo, s7
	v_add_co_u32 v17, vcc_lo, s20, v0
	v_add_co_ci_u32_e64 v18, null, s21, v1, vcc_lo
                                        ; implicit-def: $vgpr19
	global_load_dword v15, v[17:18], off
                                        ; implicit-def: $vgpr18
	s_waitcnt vmcnt(0)
	v_and_b32_e32 v17, 0x7fffffff, v15
	v_cmp_ngt_f32_e64 s33, 0x48000000, |v15|
	v_lshrrev_b32_e32 v2, 23, v17
	v_and_or_b32 v20, v17, s29, 0x800000
	v_add_nc_u32_e32 v21, 0xffffff88, v2
	s_and_saveexec_b32 s7, s33
	s_xor_b32 s34, exec_lo, s7
	s_cbranch_execz .LBB5_20
; %bb.19:                               ;   in Loop: Header=BB5_2 Depth=1
	v_mad_u64_u32 v[18:19], null, 0xfe5163ab, v20, 0
	v_cmp_lt_u32_e32 vcc_lo, 63, v21
	v_mov_b32_e32 v2, v19
	v_cndmask_b32_e64 v19, 0, 0xffffffc0, vcc_lo
	v_mad_u64_u32 v[22:23], null, 0x3c439041, v20, v[2:3]
	v_add_nc_u32_e32 v19, v19, v21
	v_cmp_lt_u32_e64 s7, 31, v19
	v_mov_b32_e32 v2, v23
	v_cndmask_b32_e64 v28, 0, 0xffffffe0, s7
	v_mad_u64_u32 v[23:24], null, 0xdb629599, v20, v[2:3]
	v_add_nc_u32_e32 v19, v28, v19
	v_mov_b32_e32 v2, v24
	v_cmp_lt_u32_e64 s8, 31, v19
	v_cndmask_b32_e32 v18, v23, v18, vcc_lo
	v_mad_u64_u32 v[24:25], null, 0xf534ddc0, v20, v[2:3]
	v_mov_b32_e32 v2, v25
	v_mad_u64_u32 v[25:26], null, 0xfc2757d1, v20, v[2:3]
	v_mov_b32_e32 v2, v26
	;; [unrolled: 2-line block ×3, first 2 shown]
	v_cndmask_b32_e32 v29, v26, v24, vcc_lo
	v_mad_u64_u32 v[27:28], null, 0xa2f9836e, v20, v[2:3]
	v_cndmask_b32_e64 v2, 0, 0xffffffe0, s8
	v_add_nc_u32_e32 v2, v2, v19
	v_cndmask_b32_e32 v27, v27, v25, vcc_lo
	v_cndmask_b32_e32 v26, v28, v26, vcc_lo
	;; [unrolled: 1-line block ×4, first 2 shown]
	v_cmp_eq_u32_e32 vcc_lo, 0, v2
	v_cndmask_b32_e64 v22, v27, v29, s7
	v_cndmask_b32_e64 v24, v26, v27, s7
	;; [unrolled: 1-line block ×3, first 2 shown]
	v_sub_nc_u32_e32 v27, 32, v2
	v_cndmask_b32_e64 v25, v25, v19, s7
	v_cndmask_b32_e64 v18, v19, v18, s7
	;; [unrolled: 1-line block ×6, first 2 shown]
	v_alignbit_b32 v28, v24, v22, v27
	v_alignbit_b32 v23, v22, v26, v27
	;; [unrolled: 1-line block ×3, first 2 shown]
	v_cndmask_b32_e32 v2, v28, v24, vcc_lo
	v_cndmask_b32_e32 v19, v23, v22, vcc_lo
	;; [unrolled: 1-line block ×3, first 2 shown]
	v_bfe_u32 v22, v2, 29, 1
	v_alignbit_b32 v23, v2, v19, 30
	v_alignbit_b32 v19, v19, v25, 30
	;; [unrolled: 1-line block ×3, first 2 shown]
	v_sub_nc_u32_e32 v24, 0, v22
	v_xor_b32_e32 v23, v23, v24
	v_xor_b32_e32 v19, v19, v24
	;; [unrolled: 1-line block ×3, first 2 shown]
	v_lshrrev_b32_e32 v24, 29, v2
	v_lshrrev_b32_e32 v2, 30, v2
	v_ffbh_u32_e32 v26, v23
	v_min_u32_e32 v26, 32, v26
	v_sub_nc_u32_e32 v25, 31, v26
	v_lshlrev_b32_e32 v27, 23, v26
	v_alignbit_b32 v23, v23, v19, v25
	v_alignbit_b32 v18, v19, v18, v25
	v_lshlrev_b32_e32 v19, 31, v24
	v_alignbit_b32 v24, v23, v18, 9
	v_or_b32_e32 v25, 0.5, v19
	v_lshrrev_b32_e32 v23, 9, v23
	v_or_b32_e32 v19, 0x33000000, v19
	v_ffbh_u32_e32 v28, v24
	v_sub_nc_u32_e32 v25, v25, v27
	v_min_u32_e32 v27, 32, v28
	v_or_b32_e32 v23, v23, v25
	v_not_b32_e32 v25, v27
	v_mul_f32_e32 v28, 0x3fc90fda, v23
	v_add_lshl_u32 v26, v27, v26, 23
	v_alignbit_b32 v18, v24, v18, v25
	v_fma_f32 v24, 0x3fc90fda, v23, -v28
	v_sub_nc_u32_e32 v19, v19, v26
	v_lshrrev_b32_e32 v18, 9, v18
	v_fmac_f32_e32 v24, 0x33a22168, v23
	v_or_b32_e32 v18, v19, v18
	v_add_nc_u32_e32 v19, v22, v2
	v_fmac_f32_e32 v24, 0x3fc90fda, v18
	v_add_f32_e32 v18, v28, v24
.LBB5_20:                               ;   in Loop: Header=BB5_2 Depth=1
	s_or_saveexec_b32 s7, s34
	v_mul_f32_e64 v2, 0x3f22f983, |v15|
	v_rndne_f32_e32 v23, v2
	s_xor_b32 exec_lo, exec_lo, s7
; %bb.21:                               ;   in Loop: Header=BB5_2 Depth=1
	v_fma_f32 v18, 0xbfc90fda, v23, |v15|
	v_cvt_i32_f32_e32 v19, v23
	v_fmac_f32_e32 v18, 0xb3a22168, v23
	v_fmac_f32_e32 v18, 0xa7c234c4, v23
; %bb.22:                               ;   in Loop: Header=BB5_2 Depth=1
	s_or_b32 exec_lo, exec_lo, s7
                                        ; implicit-def: $vgpr22
                                        ; implicit-def: $vgpr2
	s_and_saveexec_b32 s7, s33
	s_xor_b32 s33, exec_lo, s7
	s_cbranch_execz .LBB5_24
; %bb.23:                               ;   in Loop: Header=BB5_2 Depth=1
	v_mad_u64_u32 v[22:23], null, 0xfe5163ab, v20, 0
	v_cmp_lt_u32_e32 vcc_lo, 63, v21
	v_cndmask_b32_e64 v28, 0, 0xffffffc0, vcc_lo
	v_mov_b32_e32 v2, v23
	v_add_nc_u32_e32 v21, v28, v21
	v_mad_u64_u32 v[23:24], null, 0x3c439041, v20, v[2:3]
	v_cmp_lt_u32_e64 s7, 31, v21
	v_mov_b32_e32 v2, v24
	v_cndmask_b32_e64 v29, 0, 0xffffffe0, s7
	v_mad_u64_u32 v[24:25], null, 0xdb629599, v20, v[2:3]
	v_mov_b32_e32 v2, v25
	v_cndmask_b32_e32 v22, v24, v22, vcc_lo
	v_mad_u64_u32 v[25:26], null, 0xf534ddc0, v20, v[2:3]
	v_mov_b32_e32 v2, v26
	v_cndmask_b32_e32 v23, v25, v23, vcc_lo
	v_mad_u64_u32 v[26:27], null, 0xfc2757d1, v20, v[2:3]
	v_mov_b32_e32 v2, v27
	v_mad_u64_u32 v[27:28], null, 0x4e441529, v20, v[2:3]
	v_mov_b32_e32 v2, v28
	v_add_nc_u32_e32 v28, v29, v21
	v_cndmask_b32_e32 v29, v27, v25, vcc_lo
	v_mad_u64_u32 v[20:21], null, 0xa2f9836e, v20, v[2:3]
	v_cmp_lt_u32_e64 s8, 31, v28
	v_cndmask_b32_e64 v2, 0, 0xffffffe0, s8
	v_cndmask_b32_e32 v20, v20, v26, vcc_lo
	v_cndmask_b32_e32 v21, v21, v27, vcc_lo
	;; [unrolled: 1-line block ×3, first 2 shown]
	v_add_nc_u32_e32 v2, v2, v28
	v_cndmask_b32_e64 v25, v20, v29, s7
	v_cndmask_b32_e64 v20, v21, v20, s7
	;; [unrolled: 1-line block ×4, first 2 shown]
	v_sub_nc_u32_e32 v27, 32, v2
	v_cmp_eq_u32_e32 vcc_lo, 0, v2
	v_cndmask_b32_e64 v20, v20, v25, s8
	v_cndmask_b32_e64 v25, v25, v21, s8
	;; [unrolled: 1-line block ×3, first 2 shown]
	v_alignbit_b32 v28, v20, v25, v27
	v_alignbit_b32 v24, v25, v21, v27
	v_cndmask_b32_e32 v2, v28, v20, vcc_lo
	v_cndmask_b32_e64 v20, v23, v22, s7
	v_cndmask_b32_e32 v22, v24, v25, vcc_lo
	v_bfe_u32 v23, v2, 29, 1
	v_cndmask_b32_e64 v20, v26, v20, s8
	v_alignbit_b32 v24, v2, v22, 30
	v_sub_nc_u32_e32 v25, 0, v23
	v_alignbit_b32 v26, v21, v20, v27
	v_xor_b32_e32 v24, v24, v25
	v_cndmask_b32_e32 v21, v26, v21, vcc_lo
	v_ffbh_u32_e32 v26, v24
	v_alignbit_b32 v22, v22, v21, 30
	v_alignbit_b32 v20, v21, v20, 30
	v_min_u32_e32 v26, 32, v26
	v_xor_b32_e32 v21, v22, v25
	v_xor_b32_e32 v20, v20, v25
	v_lshrrev_b32_e32 v25, 29, v2
	v_sub_nc_u32_e32 v22, 31, v26
	v_lshlrev_b32_e32 v27, 23, v26
	v_alignbit_b32 v24, v24, v21, v22
	v_alignbit_b32 v20, v21, v20, v22
	v_lshlrev_b32_e32 v21, 31, v25
	v_alignbit_b32 v22, v24, v20, 9
	v_or_b32_e32 v25, 0.5, v21
	v_lshrrev_b32_e32 v24, 9, v24
	v_or_b32_e32 v21, 0x33000000, v21
	v_ffbh_u32_e32 v28, v22
	v_sub_nc_u32_e32 v25, v25, v27
	v_min_u32_e32 v27, 32, v28
	v_or_b32_e32 v24, v24, v25
	v_not_b32_e32 v25, v27
	v_mul_f32_e32 v28, 0x3fc90fda, v24
	v_add_lshl_u32 v26, v27, v26, 23
	v_alignbit_b32 v20, v22, v20, v25
	v_fma_f32 v22, 0x3fc90fda, v24, -v28
	v_sub_nc_u32_e32 v21, v21, v26
	v_lshrrev_b32_e32 v20, 9, v20
	v_fmac_f32_e32 v22, 0x33a22168, v24
	v_or_b32_e32 v20, v21, v20
	v_fmac_f32_e32 v22, 0x3fc90fda, v20
	v_lshrrev_b32_e32 v20, 30, v2
	v_add_f32_e32 v2, v28, v22
	v_add_nc_u32_e32 v22, v23, v20
                                        ; implicit-def: $vgpr23
	s_andn2_saveexec_b32 s7, s33
	s_cbranch_execz .LBB5_1
	s_branch .LBB5_25
.LBB5_24:                               ;   in Loop: Header=BB5_2 Depth=1
	s_andn2_saveexec_b32 s7, s33
	s_cbranch_execz .LBB5_1
.LBB5_25:                               ;   in Loop: Header=BB5_2 Depth=1
	v_fma_f32 v2, 0xbfc90fda, v23, |v15|
	v_cvt_i32_f32_e32 v22, v23
	v_fmac_f32_e32 v2, 0xb3a22168, v23
	v_fmac_f32_e32 v2, 0xa7c234c4, v23
	s_branch .LBB5_1
.LBB5_26:
	s_clause 0x1
	s_load_dwordx2 s[8:9], s[4:5], 0x0
	s_load_dwordx4 s[16:19], s[4:5], 0x48
	buffer_load_dword v0, off, s[0:3], 0 offset:128
	v_mov_b32_e32 v120, 0
	s_mov_b32 s21, 0
	s_mov_b32 s20, s21
	s_waitcnt lgkmcnt(0)
	s_max_i32 s24, s9, 1
	s_max_i32 s25, s8, 1
	s_add_u32 s12, s12, 8
	s_addc_u32 s13, s13, 0
	s_waitcnt vmcnt(0)
	buffer_store_dword v0, off, s[0:3], 0 offset:1740 ; 4-byte Folded Spill
	buffer_load_dword v0, off, s[0:3], 0 offset:132
	s_waitcnt vmcnt(0)
	buffer_store_dword v0, off, s[0:3], 0 offset:1744 ; 4-byte Folded Spill
	buffer_load_dword v0, off, s[0:3], 0 offset:136
	;; [unrolled: 3-line block ×299, first 2 shown]
	s_waitcnt vmcnt(0)
	buffer_store_dword v0, off, s[0:3], 0 offset:2936 ; 4-byte Folded Spill
.LBB5_27:                               ; =>This Loop Header: Depth=1
                                        ;     Child Loop BB5_28 Depth 2
	s_lshl_b64 s[4:5], s[20:21], 4
	s_clause 0x7
	buffer_load_dword v6, off, s[0:3], 0 offset:1328
	buffer_load_dword v8, off, s[0:3], 0 offset:1332
	;; [unrolled: 1-line block ×8, first 2 shown]
	s_add_u32 s4, s14, s4
	s_addc_u32 s5, s15, s5
	s_mov_b32 s26, s24
	global_load_dwordx4 v[0:3], v120, s[4:5]
	s_mov_b64 s[22:23], s[12:13]
	s_waitcnt vmcnt(0)
	v_fmac_f32_e32 v72, v0, v6
	v_fmac_f32_e32 v73, v0, v7
	s_clause 0x7
	buffer_load_dword v12, off, s[0:3], 0 offset:1360
	buffer_load_dword v74, off, s[0:3], 0 offset:1372
	;; [unrolled: 1-line block ×8, first 2 shown]
	v_fmac_f32_e32 v72, v1, v8
	v_fmac_f32_e32 v73, v1, v9
	;; [unrolled: 1-line block ×4, first 2 shown]
	v_ashrrev_i32_e32 v4, 31, v3
	s_waitcnt vmcnt(6)
	v_fmac_f32_e32 v74, v0, v12
	s_waitcnt vmcnt(4)
	v_fmac_f32_e32 v74, v1, v11
	;; [unrolled: 2-line block ×3, first 2 shown]
	s_clause 0x7
	buffer_load_dword v76, off, s[0:3], 0 offset:1404
	buffer_load_dword v14, off, s[0:3], 0 offset:1392
	;; [unrolled: 1-line block ×8, first 2 shown]
	v_fmac_f32_e32 v74, v2, v7
	v_fmac_f32_e32 v75, v1, v10
	;; [unrolled: 1-line block ×3, first 2 shown]
	s_waitcnt vmcnt(6)
	v_fmac_f32_e32 v76, v0, v14
	s_waitcnt vmcnt(4)
	v_fmac_f32_e32 v77, v0, v15
	s_clause 0x7
	buffer_load_dword v78, off, s[0:3], 0 offset:1436
	buffer_load_dword v18, off, s[0:3], 0 offset:1424
	buffer_load_dword v19, off, s[0:3], 0 offset:1440
	buffer_load_dword v79, off, s[0:3], 0 offset:1452
	buffer_load_dword v20, off, s[0:3], 0 offset:1444
	buffer_load_dword v14, off, s[0:3], 0 offset:1448
	buffer_load_dword v21, off, s[0:3], 0 offset:1428
	buffer_load_dword v15, off, s[0:3], 0 offset:1432
	s_waitcnt vmcnt(9)
	v_fmac_f32_e32 v76, v1, v17
	v_fmac_f32_e32 v77, v1, v16
	s_waitcnt vmcnt(8)
	v_fmac_f32_e32 v76, v2, v13
	v_fmac_f32_e32 v77, v2, v12
	s_waitcnt vmcnt(6)
	v_fmac_f32_e32 v78, v0, v18
	s_waitcnt vmcnt(4)
	v_fmac_f32_e32 v79, v0, v19
	s_clause 0x7
	buffer_load_dword v80, off, s[0:3], 0 offset:1468
	buffer_load_dword v22, off, s[0:3], 0 offset:1456
	buffer_load_dword v23, off, s[0:3], 0 offset:1472
	buffer_load_dword v81, off, s[0:3], 0 offset:1484
	buffer_load_dword v24, off, s[0:3], 0 offset:1476
	buffer_load_dword v18, off, s[0:3], 0 offset:1480
	buffer_load_dword v25, off, s[0:3], 0 offset:1460
	buffer_load_dword v19, off, s[0:3], 0 offset:1464
	s_waitcnt vmcnt(9)
	v_fmac_f32_e32 v78, v1, v21
	v_fmac_f32_e32 v79, v1, v20
	s_waitcnt vmcnt(8)
	v_fmac_f32_e32 v78, v2, v15
	v_fmac_f32_e32 v79, v2, v14
	;; [unrolled: 19-line block ×7, first 2 shown]
	s_waitcnt vmcnt(6)
	v_fmac_f32_e32 v90, v0, v22
	s_waitcnt vmcnt(4)
	v_fmac_f32_e32 v91, v0, v23
	s_clause 0x5
	buffer_load_dword v111, off, s[0:3], 0 offset:1660
	buffer_load_dword v22, off, s[0:3], 0 offset:1648
	;; [unrolled: 1-line block ×6, first 2 shown]
	s_waitcnt vmcnt(7)
	v_fmac_f32_e32 v90, v1, v44
	v_fmac_f32_e32 v91, v1, v42
	s_waitcnt vmcnt(6)
	v_fmac_f32_e32 v90, v2, v45
	v_fmac_f32_e32 v91, v2, v43
	s_waitcnt vmcnt(4)
	v_fmac_f32_e32 v111, v0, v22
	s_waitcnt vmcnt(0)
	v_fma_f32 v7, v0, v5, v6
	buffer_load_dword v5, off, s[0:3], 0 offset:1744 ; 4-byte Folded Reload
	v_fmac_f32_e32 v111, v1, v23
	v_fmac_f32_e32 v111, v2, v46
	s_waitcnt vmcnt(0)
	v_fmac_f32_e32 v7, v1, v5
	s_clause 0x1
	buffer_load_dword v5, off, s[0:3], 0 offset:1756
	buffer_load_dword v6, off, s[0:3], 0 offset:1768
	s_waitcnt vmcnt(0)
	v_fma_f32 v8, v0, v5, v6
	buffer_load_dword v5, off, s[0:3], 0 offset:1760 ; 4-byte Folded Reload
	s_waitcnt vmcnt(0)
	v_fmac_f32_e32 v8, v1, v5
	s_clause 0x1
	buffer_load_dword v5, off, s[0:3], 0 offset:1772
	buffer_load_dword v6, off, s[0:3], 0 offset:1784
	s_waitcnt vmcnt(0)
	v_fma_f32 v9, v0, v5, v6
	buffer_load_dword v5, off, s[0:3], 0 offset:1776 ; 4-byte Folded Reload
	;; [unrolled: 8-line block ×60, first 2 shown]
	s_waitcnt vmcnt(0)
	v_fmac_f32_e32 v54, v1, v5
	buffer_load_dword v5, off, s[0:3], 0 offset:1748 ; 4-byte Folded Reload
	s_waitcnt vmcnt(0)
	v_fmac_f32_e32 v7, v2, v5
	buffer_load_dword v5, off, s[0:3], 0 offset:1764 ; 4-byte Folded Reload
	buffer_store_dword v7, off, s[0:3], 0 offset:1664 ; 4-byte Folded Spill
	s_waitcnt vmcnt(0)
	v_fmac_f32_e32 v8, v2, v5
	buffer_load_dword v5, off, s[0:3], 0 offset:1780 ; 4-byte Folded Reload
	buffer_store_dword v8, off, s[0:3], 0 offset:1668 ; 4-byte Folded Spill
	;; [unrolled: 4-line block ×19, first 2 shown]
	s_waitcnt vmcnt(0)
	v_fmac_f32_e32 v13, v2, v5
	buffer_load_dword v5, off, s[0:3], 0 offset:2088 ; 4-byte Folded Reload
	s_waitcnt vmcnt(0)
	v_fmac_f32_e32 v14, v2, v5
	buffer_load_dword v5, off, s[0:3], 0 offset:2084 ; 4-byte Folded Reload
	;; [unrolled: 3-line block ×40, first 2 shown]
	s_waitcnt vmcnt(0)
	v_fmac_f32_e32 v53, v2, v5
	s_clause 0x1
	buffer_load_dword v5, off, s[0:3], 0 offset:2712
	buffer_load_dword v6, off, s[0:3], 0 offset:2716
	s_waitcnt vmcnt(0)
	v_fma_f32 v55, v0, v6, v5
	buffer_load_dword v5, off, s[0:3], 0 offset:2720 ; 4-byte Folded Reload
	s_waitcnt vmcnt(0)
	v_fmac_f32_e32 v55, v1, v5
	s_clause 0x1
	buffer_load_dword v5, off, s[0:3], 0 offset:2732
	buffer_load_dword v6, off, s[0:3], 0 offset:2736
	s_waitcnt vmcnt(0)
	v_fma_f32 v56, v0, v6, v5
	buffer_load_dword v5, off, s[0:3], 0 offset:2740 ; 4-byte Folded Reload
	;; [unrolled: 8-line block ×4, first 2 shown]
	s_waitcnt vmcnt(0)
	v_fmac_f32_e32 v58, v1, v5
	buffer_load_dword v5, off, s[0:3], 0 offset:2728 ; 4-byte Folded Reload
	s_waitcnt vmcnt(0)
	v_fmac_f32_e32 v54, v2, v5
	buffer_load_dword v5, off, s[0:3], 0 offset:2724 ; 4-byte Folded Reload
	;; [unrolled: 3-line block ×5, first 2 shown]
	s_waitcnt vmcnt(0)
	v_fmac_f32_e32 v58, v2, v5
	s_clause 0x1
	buffer_load_dword v5, off, s[0:3], 0 offset:2776
	buffer_load_dword v6, off, s[0:3], 0 offset:2780
	s_waitcnt vmcnt(0)
	v_fma_f32 v59, v0, v6, v5
	buffer_load_dword v5, off, s[0:3], 0 offset:2784 ; 4-byte Folded Reload
	s_waitcnt vmcnt(0)
	v_fmac_f32_e32 v59, v1, v5
	s_clause 0x1
	buffer_load_dword v5, off, s[0:3], 0 offset:2796
	buffer_load_dword v6, off, s[0:3], 0 offset:2800
	s_waitcnt vmcnt(0)
	v_fma_f32 v60, v0, v6, v5
	buffer_load_dword v5, off, s[0:3], 0 offset:2804 ; 4-byte Folded Reload
	;; [unrolled: 8-line block ×5, first 2 shown]
	s_waitcnt vmcnt(0)
	v_fmac_f32_e32 v63, v1, v5
	buffer_load_dword v5, off, s[0:3], 0 offset:2788 ; 4-byte Folded Reload
	s_waitcnt vmcnt(0)
	v_fmac_f32_e32 v59, v2, v5
	buffer_load_dword v5, off, s[0:3], 0 offset:2824 ; 4-byte Folded Reload
	;; [unrolled: 3-line block ×5, first 2 shown]
	s_waitcnt vmcnt(0)
	v_fmac_f32_e32 v63, v2, v5
	s_clause 0x1
	buffer_load_dword v5, off, s[0:3], 0 offset:2860
	buffer_load_dword v6, off, s[0:3], 0 offset:2864
	s_waitcnt vmcnt(0)
	v_fma_f32 v64, v0, v6, v5
	buffer_load_dword v5, off, s[0:3], 0 offset:2868 ; 4-byte Folded Reload
	s_waitcnt vmcnt(0)
	v_fmac_f32_e32 v64, v1, v5
	s_clause 0x1
	buffer_load_dword v5, off, s[0:3], 0 offset:2872
	buffer_load_dword v6, off, s[0:3], 0 offset:2876
	s_waitcnt vmcnt(0)
	v_fma_f32 v65, v0, v6, v5
	buffer_load_dword v5, off, s[0:3], 0 offset:2880 ; 4-byte Folded Reload
	;; [unrolled: 8-line block ×5, first 2 shown]
	s_waitcnt vmcnt(0)
	v_fmac_f32_e32 v68, v1, v0
	buffer_load_dword v0, off, s[0:3], 0 offset:2888 ; 4-byte Folded Reload
	s_waitcnt vmcnt(0)
	v_fmac_f32_e32 v64, v2, v0
	buffer_load_dword v0, off, s[0:3], 0 offset:2884 ; 4-byte Folded Reload
	;; [unrolled: 3-line block ×5, first 2 shown]
	s_waitcnt vmcnt(0)
	v_fmac_f32_e32 v68, v2, v0
	v_lshlrev_b64 v[0:1], 4, v[3:4]
	v_add_co_u32 v0, vcc_lo, s18, v0
	v_add_co_ci_u32_e64 v1, null, s19, v1, vcc_lo
	global_load_dwordx4 v[0:3], v[0:1], off
	s_waitcnt vmcnt(0)
	v_cmp_eq_u32_e64 s7, 0x46, v0
	v_cmp_eq_u32_e64 s8, 0x45, v0
	s_clause 0x1f
	buffer_load_dword v112, off, s[0:3], 0
	buffer_load_dword v110, off, s[0:3], 0 offset:4
	buffer_load_dword v109, off, s[0:3], 0 offset:8
	;; [unrolled: 1-line block ×31, first 2 shown]
	v_cmp_gt_f32_e64 s4, 0, v2
	v_cmp_lt_f32_e64 s5, 0, v2
.LBB5_28:                               ;   Parent Loop BB5_27 Depth=1
                                        ; =>  This Inner Loop Header: Depth=2
	global_load_dwordx4 v[4:7], v120, s[22:23] offset:-8
	s_waitcnt vmcnt(0)
	v_ashrrev_i32_e32 v10, 31, v7
	v_mov_b32_e32 v9, v7
	v_lshlrev_b64 v[9:10], 4, v[9:10]
	v_add_co_u32 v9, vcc_lo, s18, v9
	v_add_co_ci_u32_e64 v10, null, s19, v10, vcc_lo
	global_load_dwordx4 v[9:12], v[9:10], off
	s_waitcnt vmcnt(0)
	v_add_f32_e32 v122, v1, v10
	v_cmp_lt_f32_e64 s10, 0, v11
	v_div_scale_f32 v7, null, v122, v122, 1.0
	s_and_b32 s10, s10, s4
	v_rcp_f32_e32 v10, v7
	v_fma_f32 v120, -v7, v10, 1.0
	v_fmac_f32_e32 v10, v120, v10
	v_div_scale_f32 v120, vcc_lo, 1.0, v122, 1.0
	v_mul_f32_e32 v121, v120, v10
	v_fma_f32 v123, -v7, v121, v120
	v_fmac_f32_e32 v121, v123, v10
	v_fma_f32 v7, -v7, v121, v120
	v_div_fmas_f32 v7, v7, v10, v121
	v_cmp_eq_u32_e32 vcc_lo, 0x46, v9
	v_cndmask_b32_e64 v10, v2, -v2, s10
	v_div_fixup_f32 v124, v7, v122, 1.0
	s_and_b32 s9, vcc_lo, s7
	v_cmp_eq_u32_e32 vcc_lo, 0x45, v9
	v_cndmask_b32_e64 v121, 2.0, 4.0, s9
	v_cndmask_b32_e64 v123, 0.5, 0x3e800000, s9
	v_cmp_neq_f32_e64 s9, 0, v11
	v_cndmask_b32_e64 v7, 1.0, 0x40b00000, s4
	s_or_b32 s27, vcc_lo, s8
	v_cmp_gt_f32_e32 vcc_lo, 0, v11
	s_and_b32 s28, vcc_lo, s5
	v_cndmask_b32_e64 v9, v11, -v11, s28
	v_cndmask_b32_e64 v11, 0xff7fffff, 1.0, s4
	v_cndmask_b32_e32 v7, v11, v7, vcc_lo
	v_div_scale_f32 v11, null, v7, v7, 1.0
	v_rcp_f32_e32 v120, v11
	v_fma_f32 v125, -v11, v120, 1.0
	v_fmac_f32_e32 v120, v125, v120
	v_div_scale_f32 v125, vcc_lo, 1.0, v7, 1.0
	v_mul_f32_e32 v126, v125, v120
	v_fma_f32 v127, -v11, v126, v125
	v_fmac_f32_e32 v126, v127, v120
	v_sub_f32_e32 v127, v91, v5
	v_fma_f32 v11, -v11, v126, v125
	v_div_fmas_f32 v11, v11, v120, v126
	v_add_f32_e32 v120, v9, v10
	s_clause 0x1
	buffer_load_dword v9, off, s[0:3], 0 offset:1664
	buffer_load_dword v10, off, s[0:3], 0 offset:1668
	v_mul_f32_e32 v126, v3, v12
	v_div_fixup_f32 v125, v11, v7, 1.0
	buffer_load_dword v11, off, s[0:3], 0 offset:1672 ; 4-byte Folded Reload
	s_waitcnt vmcnt(2)
	v_sub_f32_e32 v9, v9, v4
	s_waitcnt vmcnt(1)
	v_sub_f32_e32 v10, v10, v5
	s_waitcnt vmcnt(0)
	v_sub_f32_e32 v11, v11, v6
	v_mul_f32_e32 v10, v10, v10
	v_fmac_f32_e32 v10, v9, v9
	v_fmac_f32_e32 v10, v11, v11
	v_cmp_gt_f32_e32 vcc_lo, 0xf800000, v10
	v_mul_f32_e32 v9, 0x4f800000, v10
	v_cndmask_b32_e32 v9, v10, v9, vcc_lo
	v_sqrt_f32_e32 v10, v9
	v_add_nc_u32_e32 v11, -1, v10
	v_fma_f32 v12, -v11, v10, v9
	v_cmp_ge_f32_e64 s10, 0, v12
	v_add_nc_u32_e32 v12, 1, v10
	v_cndmask_b32_e64 v11, v10, v11, s10
	v_fma_f32 v10, -v12, v10, v9
	v_cmp_lt_f32_e64 s10, 0, v10
	v_cndmask_b32_e64 v10, v11, v12, s10
	v_mul_f32_e32 v11, 0x37800000, v10
	v_cndmask_b32_e32 v10, v10, v11, vcc_lo
	v_cmp_class_f32_e64 vcc_lo, v9, 0x260
	v_cndmask_b32_e32 v9, v10, v9, vcc_lo
	v_sub_f32_e32 v10, v9, v122
	v_fma_f32 v9, -v124, v9, 1.0
	v_cmp_gt_f32_e32 vcc_lo, 0, v10
	v_cmp_lt_f32_e64 s10, v10, v121
	v_cndmask_b32_e64 v11, 0, 0x42980000, vcc_lo
	v_fmac_f32_e32 v112, v9, v11
	v_fma_f32 v9, -v123, v10, 1.0
	v_cndmask_b32_e64 v11, 0, 1.0, s10
	v_cmp_lt_f32_e64 s10, v10, v7
	v_cndmask_b32_e64 v9, v9, 1.0, vcc_lo
	s_and_b32 s10, s9, s10
	v_mul_f32_e32 v9, v11, v9
	buffer_load_dword v11, off, s[0:3], 0 offset:1684 ; 4-byte Folded Reload
	v_mul_f32_e32 v9, v126, v9
	v_cndmask_b32_e64 v9, v9, -|v9|, s27
	v_fmac_f32_e32 v112, 0x42340000, v9
	v_fma_f32 v9, -v125, v10, 1.0
	v_cndmask_b32_e64 v10, 0, 1.0, s10
	v_cndmask_b32_e64 v9, v9, 1.0, vcc_lo
	v_mul_f32_e32 v10, v120, v10
	v_fmac_f32_e32 v112, v9, v10
	s_clause 0x1
	buffer_load_dword v9, off, s[0:3], 0 offset:1676
	buffer_load_dword v10, off, s[0:3], 0 offset:1680
	s_waitcnt vmcnt(2)
	v_sub_f32_e32 v11, v11, v6
	s_waitcnt vmcnt(1)
	v_sub_f32_e32 v9, v9, v4
	s_waitcnt vmcnt(0)
	v_sub_f32_e32 v10, v10, v5
	v_mul_f32_e32 v10, v10, v10
	v_fmac_f32_e32 v10, v9, v9
	v_fmac_f32_e32 v10, v11, v11
	v_cmp_gt_f32_e32 vcc_lo, 0xf800000, v10
	v_mul_f32_e32 v9, 0x4f800000, v10
	v_cndmask_b32_e32 v9, v10, v9, vcc_lo
	v_sqrt_f32_e32 v10, v9
	v_add_nc_u32_e32 v11, -1, v10
	v_fma_f32 v12, -v11, v10, v9
	v_cmp_ge_f32_e64 s10, 0, v12
	v_add_nc_u32_e32 v12, 1, v10
	v_cndmask_b32_e64 v11, v10, v11, s10
	v_fma_f32 v10, -v12, v10, v9
	v_cmp_lt_f32_e64 s10, 0, v10
	v_cndmask_b32_e64 v10, v11, v12, s10
	v_mul_f32_e32 v11, 0x37800000, v10
	v_cndmask_b32_e32 v10, v10, v11, vcc_lo
	v_cmp_class_f32_e64 vcc_lo, v9, 0x260
	v_cndmask_b32_e32 v9, v10, v9, vcc_lo
	v_sub_f32_e32 v10, v9, v122
	v_fma_f32 v9, -v124, v9, 1.0
	v_cmp_gt_f32_e32 vcc_lo, 0, v10
	v_cmp_lt_f32_e64 s10, v10, v121
	v_cndmask_b32_e64 v11, 0, 0x42980000, vcc_lo
	v_fmac_f32_e32 v110, v9, v11
	v_fma_f32 v9, -v123, v10, 1.0
	v_cndmask_b32_e64 v11, 0, 1.0, s10
	v_cmp_lt_f32_e64 s10, v10, v7
	v_cndmask_b32_e64 v9, v9, 1.0, vcc_lo
	s_and_b32 s10, s9, s10
	v_mul_f32_e32 v9, v11, v9
	buffer_load_dword v11, off, s[0:3], 0 offset:1696 ; 4-byte Folded Reload
	v_mul_f32_e32 v9, v126, v9
	v_cndmask_b32_e64 v9, v9, -|v9|, s27
	v_fmac_f32_e32 v110, 0x42340000, v9
	v_fma_f32 v9, -v125, v10, 1.0
	v_cndmask_b32_e64 v10, 0, 1.0, s10
	v_cndmask_b32_e64 v9, v9, 1.0, vcc_lo
	v_mul_f32_e32 v10, v120, v10
	v_fmac_f32_e32 v110, v9, v10
	s_clause 0x1
	buffer_load_dword v9, off, s[0:3], 0 offset:1688
	buffer_load_dword v10, off, s[0:3], 0 offset:1692
	;; [unrolled: 49-line block ×5, first 2 shown]
	s_waitcnt vmcnt(2)
	v_sub_f32_e32 v11, v11, v6
	s_waitcnt vmcnt(1)
	v_sub_f32_e32 v9, v9, v4
	;; [unrolled: 2-line block ×3, first 2 shown]
	v_mul_f32_e32 v10, v10, v10
	v_fmac_f32_e32 v10, v9, v9
	v_fmac_f32_e32 v10, v11, v11
	v_cmp_gt_f32_e32 vcc_lo, 0xf800000, v10
	v_mul_f32_e32 v9, 0x4f800000, v10
	v_cndmask_b32_e32 v9, v10, v9, vcc_lo
	v_sqrt_f32_e32 v10, v9
	v_add_nc_u32_e32 v11, -1, v10
	v_fma_f32 v12, -v11, v10, v9
	v_cmp_ge_f32_e64 s10, 0, v12
	v_add_nc_u32_e32 v12, 1, v10
	v_cndmask_b32_e64 v11, v10, v11, s10
	v_fma_f32 v10, -v12, v10, v9
	v_cmp_lt_f32_e64 s10, 0, v10
	v_cndmask_b32_e64 v10, v11, v12, s10
	v_mul_f32_e32 v11, 0x37800000, v10
	v_cndmask_b32_e32 v10, v10, v11, vcc_lo
	v_cmp_class_f32_e64 vcc_lo, v9, 0x260
	v_cndmask_b32_e32 v9, v10, v9, vcc_lo
	v_sub_f32_e32 v10, v9, v122
	v_fma_f32 v9, -v124, v9, 1.0
	v_cmp_gt_f32_e32 vcc_lo, 0, v10
	v_cmp_lt_f32_e64 s10, v10, v121
	v_cndmask_b32_e64 v11, 0, 0x42980000, vcc_lo
	v_fmac_f32_e32 v106, v9, v11
	v_fma_f32 v9, -v123, v10, 1.0
	v_cndmask_b32_e64 v11, 0, 1.0, s10
	v_cmp_lt_f32_e64 s10, v10, v7
	v_cndmask_b32_e64 v9, v9, 1.0, vcc_lo
	s_and_b32 s10, s9, s10
	v_mul_f32_e32 v9, v11, v9
	v_sub_f32_e32 v11, v14, v6
	v_mul_f32_e32 v9, v126, v9
	v_cndmask_b32_e64 v9, v9, -|v9|, s27
	v_fmac_f32_e32 v106, 0x42340000, v9
	v_fma_f32 v9, -v125, v10, 1.0
	v_cndmask_b32_e64 v10, 0, 1.0, s10
	v_cndmask_b32_e64 v9, v9, 1.0, vcc_lo
	v_mul_f32_e32 v10, v120, v10
	v_fmac_f32_e32 v106, v9, v10
	buffer_load_dword v9, off, s[0:3], 0 offset:1736 ; 4-byte Folded Reload
	v_sub_f32_e32 v10, v13, v5
	v_mul_f32_e32 v10, v10, v10
	s_waitcnt vmcnt(0)
	v_sub_f32_e32 v9, v9, v4
	v_fmac_f32_e32 v10, v9, v9
	v_fmac_f32_e32 v10, v11, v11
	v_cmp_gt_f32_e32 vcc_lo, 0xf800000, v10
	v_mul_f32_e32 v9, 0x4f800000, v10
	v_cndmask_b32_e32 v9, v10, v9, vcc_lo
	v_sqrt_f32_e32 v10, v9
	v_add_nc_u32_e32 v11, -1, v10
	v_fma_f32 v12, -v11, v10, v9
	v_cmp_ge_f32_e64 s10, 0, v12
	v_add_nc_u32_e32 v12, 1, v10
	v_cndmask_b32_e64 v11, v10, v11, s10
	v_fma_f32 v10, -v12, v10, v9
	v_cmp_lt_f32_e64 s10, 0, v10
	v_cndmask_b32_e64 v10, v11, v12, s10
	v_mul_f32_e32 v11, 0x37800000, v10
	v_cndmask_b32_e32 v10, v10, v11, vcc_lo
	v_cmp_class_f32_e64 vcc_lo, v9, 0x260
	v_cndmask_b32_e32 v9, v10, v9, vcc_lo
	v_sub_f32_e32 v10, v9, v122
	v_fma_f32 v9, -v124, v9, 1.0
	v_cmp_gt_f32_e32 vcc_lo, 0, v10
	v_cmp_lt_f32_e64 s10, v10, v121
	v_cndmask_b32_e64 v11, 0, 0x42980000, vcc_lo
	v_fmac_f32_e32 v105, v9, v11
	v_fma_f32 v9, -v123, v10, 1.0
	v_cndmask_b32_e64 v11, 0, 1.0, s10
	v_cmp_lt_f32_e64 s10, v10, v7
	v_cndmask_b32_e64 v9, v9, 1.0, vcc_lo
	s_and_b32 s10, s9, s10
	v_mul_f32_e32 v9, v11, v9
	v_sub_f32_e32 v11, v17, v6
	v_mul_f32_e32 v9, v126, v9
	v_cndmask_b32_e64 v9, v9, -|v9|, s27
	v_fmac_f32_e32 v105, 0x42340000, v9
	v_fma_f32 v9, -v125, v10, 1.0
	v_cndmask_b32_e64 v10, 0, 1.0, s10
	v_cndmask_b32_e64 v9, v9, 1.0, vcc_lo
	v_mul_f32_e32 v10, v120, v10
	v_fmac_f32_e32 v105, v9, v10
	v_sub_f32_e32 v10, v16, v5
	v_sub_f32_e32 v9, v15, v4
	v_mul_f32_e32 v10, v10, v10
	v_fmac_f32_e32 v10, v9, v9
	v_fmac_f32_e32 v10, v11, v11
	v_cmp_gt_f32_e32 vcc_lo, 0xf800000, v10
	v_mul_f32_e32 v9, 0x4f800000, v10
	v_cndmask_b32_e32 v9, v10, v9, vcc_lo
	v_sqrt_f32_e32 v10, v9
	v_add_nc_u32_e32 v11, -1, v10
	v_fma_f32 v12, -v11, v10, v9
	v_cmp_ge_f32_e64 s10, 0, v12
	v_add_nc_u32_e32 v12, 1, v10
	v_cndmask_b32_e64 v11, v10, v11, s10
	v_fma_f32 v10, -v12, v10, v9
	v_cmp_lt_f32_e64 s10, 0, v10
	v_cndmask_b32_e64 v10, v11, v12, s10
	v_mul_f32_e32 v11, 0x37800000, v10
	v_cndmask_b32_e32 v10, v10, v11, vcc_lo
	v_cmp_class_f32_e64 vcc_lo, v9, 0x260
	v_cndmask_b32_e32 v9, v10, v9, vcc_lo
	v_sub_f32_e32 v10, v9, v122
	v_fma_f32 v9, -v124, v9, 1.0
	v_cmp_gt_f32_e32 vcc_lo, 0, v10
	v_cmp_lt_f32_e64 s10, v10, v121
	v_cndmask_b32_e64 v11, 0, 0x42980000, vcc_lo
	v_fmac_f32_e32 v104, v9, v11
	v_fma_f32 v9, -v123, v10, 1.0
	v_cndmask_b32_e64 v11, 0, 1.0, s10
	v_cmp_lt_f32_e64 s10, v10, v7
	v_cndmask_b32_e64 v9, v9, 1.0, vcc_lo
	s_and_b32 s10, s9, s10
	v_mul_f32_e32 v9, v11, v9
	v_sub_f32_e32 v11, v20, v6
	v_mul_f32_e32 v9, v126, v9
	v_cndmask_b32_e64 v9, v9, -|v9|, s27
	v_fmac_f32_e32 v104, 0x42340000, v9
	v_fma_f32 v9, -v125, v10, 1.0
	v_cndmask_b32_e64 v10, 0, 1.0, s10
	v_cndmask_b32_e64 v9, v9, 1.0, vcc_lo
	v_mul_f32_e32 v10, v120, v10
	v_fmac_f32_e32 v104, v9, v10
	v_sub_f32_e32 v10, v19, v5
	v_sub_f32_e32 v9, v18, v4
	v_mul_f32_e32 v10, v10, v10
	;; [unrolled: 42-line block ×23, first 2 shown]
	v_fmac_f32_e32 v10, v9, v9
	v_fmac_f32_e32 v10, v11, v11
	v_cmp_gt_f32_e32 vcc_lo, 0xf800000, v10
	v_mul_f32_e32 v9, 0x4f800000, v10
	v_cndmask_b32_e32 v9, v10, v9, vcc_lo
	v_sqrt_f32_e32 v10, v9
	v_add_nc_u32_e32 v11, -1, v10
	v_fma_f32 v12, -v11, v10, v9
	v_cmp_ge_f32_e64 s10, 0, v12
	v_add_nc_u32_e32 v12, 1, v10
	v_cndmask_b32_e64 v11, v10, v11, s10
	v_fma_f32 v10, -v12, v10, v9
	v_cmp_lt_f32_e64 s10, 0, v10
	v_cndmask_b32_e64 v10, v11, v12, s10
	v_mul_f32_e32 v11, 0x37800000, v10
	v_cndmask_b32_e32 v10, v10, v11, vcc_lo
	v_cmp_class_f32_e64 vcc_lo, v9, 0x260
	v_cndmask_b32_e32 v9, v10, v9, vcc_lo
	v_sub_f32_e32 v10, v9, v122
	v_fma_f32 v9, -v124, v9, 1.0
	v_cmp_gt_f32_e32 vcc_lo, 0, v10
	v_cmp_lt_f32_e64 s10, v10, v121
	v_cndmask_b32_e64 v11, 0, 0x42980000, vcc_lo
	v_fmac_f32_e32 v8, v9, v11
	v_fma_f32 v9, -v123, v10, 1.0
	v_cndmask_b32_e64 v11, 0, 1.0, s10
	v_cmp_lt_f32_e64 s10, v10, v7
	v_cndmask_b32_e64 v9, v9, 1.0, vcc_lo
	s_and_b32 s10, s9, s10
	v_mul_f32_e32 v9, v11, v9
	v_sub_f32_e32 v11, v89, v6
	v_mul_f32_e32 v9, v126, v9
	v_cndmask_b32_e64 v9, v9, -|v9|, s27
	v_fmac_f32_e32 v8, 0x42340000, v9
	v_fma_f32 v9, -v125, v10, 1.0
	v_cndmask_b32_e64 v10, 0, 1.0, s10
	v_cndmask_b32_e64 v9, v9, 1.0, vcc_lo
	v_mul_f32_e32 v10, v120, v10
	v_fmac_f32_e32 v8, v9, v10
	v_sub_f32_e32 v10, v88, v5
	v_sub_f32_e32 v9, v87, v4
	;; [unrolled: 1-line block ×4, first 2 shown]
	v_mul_f32_e32 v6, v127, v127
	v_mul_f32_e32 v10, v10, v10
	v_fmac_f32_e32 v6, v4, v4
	v_fmac_f32_e32 v10, v9, v9
	;; [unrolled: 1-line block ×4, first 2 shown]
	v_mul_f32_e32 v4, 0x4f800000, v6
	v_cmp_gt_f32_e32 vcc_lo, 0xf800000, v10
	v_mul_f32_e32 v9, 0x4f800000, v10
	v_cndmask_b32_e32 v9, v10, v9, vcc_lo
	v_sqrt_f32_e32 v10, v9
	v_add_nc_u32_e32 v11, -1, v10
	v_fma_f32 v12, -v11, v10, v9
	v_cmp_ge_f32_e64 s10, 0, v12
	v_add_nc_u32_e32 v12, 1, v10
	v_cndmask_b32_e64 v11, v10, v11, s10
	v_fma_f32 v10, -v12, v10, v9
	v_cmp_lt_f32_e64 s10, 0, v10
	v_cndmask_b32_e64 v10, v11, v12, s10
	v_mul_f32_e32 v11, 0x37800000, v10
	v_cndmask_b32_e32 v10, v10, v11, vcc_lo
	v_cmp_class_f32_e64 vcc_lo, v9, 0x260
	v_cndmask_b32_e32 v9, v10, v9, vcc_lo
	v_sub_f32_e32 v10, v9, v122
	v_fma_f32 v9, -v124, v9, 1.0
	v_cmp_gt_f32_e32 vcc_lo, 0, v10
	v_cmp_lt_f32_e64 s10, v10, v121
	v_cndmask_b32_e64 v11, 0, 0x42980000, vcc_lo
	v_fmac_f32_e32 v70, v9, v11
	v_fma_f32 v9, -v123, v10, 1.0
	v_cndmask_b32_e64 v11, 0, 1.0, s10
	v_cmp_lt_f32_e64 s10, v10, v7
	v_cndmask_b32_e64 v9, v9, 1.0, vcc_lo
	s_and_b32 s10, s9, s10
	v_mul_f32_e32 v9, v11, v9
	v_mul_f32_e32 v9, v126, v9
	v_cndmask_b32_e64 v9, v9, -|v9|, s27
	v_fmac_f32_e32 v70, 0x42340000, v9
	v_fma_f32 v9, -v125, v10, 1.0
	v_cndmask_b32_e64 v10, 0, 1.0, s10
	v_cndmask_b32_e64 v9, v9, 1.0, vcc_lo
	v_cmp_gt_f32_e32 vcc_lo, 0xf800000, v6
	v_mul_f32_e32 v10, v120, v10
	v_cndmask_b32_e32 v4, v6, v4, vcc_lo
	v_fmac_f32_e32 v70, v9, v10
	v_sqrt_f32_e32 v5, v4
	v_add_nc_u32_e32 v6, -1, v5
	v_fma_f32 v9, -v6, v5, v4
	v_cmp_ge_f32_e64 s10, 0, v9
	v_add_nc_u32_e32 v9, 1, v5
	v_cndmask_b32_e64 v6, v5, v6, s10
	v_fma_f32 v5, -v9, v5, v4
	v_cmp_lt_f32_e64 s10, 0, v5
	v_cndmask_b32_e64 v5, v6, v9, s10
	v_mul_f32_e32 v6, 0x37800000, v5
	v_cndmask_b32_e32 v5, v5, v6, vcc_lo
	v_cmp_class_f32_e64 vcc_lo, v4, 0x260
	v_cndmask_b32_e32 v4, v5, v4, vcc_lo
	v_sub_f32_e32 v5, v4, v122
	v_fma_f32 v4, -v124, v4, 1.0
	v_cmp_gt_f32_e32 vcc_lo, 0, v5
	v_cmp_lt_f32_e64 s10, v5, v121
	v_cndmask_b32_e64 v6, 0, 0x42980000, vcc_lo
	v_fmac_f32_e32 v69, v4, v6
	v_fma_f32 v4, -v123, v5, 1.0
	v_cndmask_b32_e64 v6, 0, 1.0, s10
	v_cmp_lt_f32_e64 s10, v5, v7
	v_cndmask_b32_e64 v4, v4, 1.0, vcc_lo
	s_and_b32 s9, s9, s10
	s_add_u32 s22, s22, 16
	s_addc_u32 s23, s23, 0
	v_mul_f32_e32 v4, v6, v4
	s_add_i32 s26, s26, -1
	s_cmp_lg_u32 s26, 0
	v_mul_f32_e32 v4, v126, v4
	v_cndmask_b32_e64 v4, v4, -|v4|, s27
	v_fmac_f32_e32 v69, 0x42340000, v4
	v_fma_f32 v4, -v125, v5, 1.0
	v_cndmask_b32_e64 v5, 0, 1.0, s9
	v_cndmask_b32_e64 v4, v4, 1.0, vcc_lo
	v_mul_f32_e32 v5, v120, v5
	v_mov_b32_e32 v120, 0
	v_fmac_f32_e32 v69, v4, v5
	s_cbranch_scc1 .LBB5_28
; %bb.29:                               ;   in Loop: Header=BB5_27 Depth=1
	s_add_i32 s20, s20, 1
	buffer_store_dword v112, off, s[0:3], 0
	buffer_store_dword v110, off, s[0:3], 0 offset:4
	buffer_store_dword v109, off, s[0:3], 0 offset:8
	;; [unrolled: 1-line block ×28, first 2 shown]
	s_cmp_lg_u32 s20, s25
	buffer_store_dword v8, off, s[0:3], 0 offset:116
	buffer_store_dword v70, off, s[0:3], 0 offset:120
	;; [unrolled: 1-line block ×3, first 2 shown]
	s_cbranch_scc1 .LBB5_27
; %bb.30:
	s_and_saveexec_b32 s4, s6
	s_cbranch_execz .LBB5_32
; %bb.31:
	s_clause 0xc
	buffer_load_dword v1, off, s[0:3], 0 offset:84
	buffer_load_dword v2, off, s[0:3], 0 offset:88
	;; [unrolled: 1-line block ×13, first 2 shown]
	v_mov_b32_e32 v41, 0
	v_mul_f32_e32 v12, 0.5, v112
	v_mul_f32_e32 v13, 0.5, v110
	;; [unrolled: 1-line block ×21, first 2 shown]
	s_waitcnt vmcnt(1)
	v_mov_b32_e32 v40, v4
	s_waitcnt vmcnt(0)
	v_lshlrev_b64 v[4:5], 2, v[40:41]
	v_add_nc_u32_e32 v40, s11, v40
	v_lshlrev_b64 v[6:7], 2, v[40:41]
	v_add_nc_u32_e32 v40, s11, v40
	v_add_co_u32 v4, vcc_lo, s16, v4
	v_add_co_ci_u32_e64 v5, null, s17, v5, vcc_lo
	v_lshlrev_b64 v[8:9], 2, v[40:41]
	v_add_nc_u32_e32 v40, s11, v40
	v_add_co_u32 v6, vcc_lo, s16, v6
	v_add_co_ci_u32_e64 v7, null, s17, v7, vcc_lo
	;; [unrolled: 4-line block ×3, first 2 shown]
	global_store_dword v[4:5], v12, off
	global_store_dword v[6:7], v13, off
	v_lshlrev_b64 v[4:5], 2, v[40:41]
	v_add_nc_u32_e32 v40, s11, v40
	global_store_dword v[8:9], v14, off
	v_add_co_u32 v6, vcc_lo, s16, v10
	v_add_co_ci_u32_e64 v7, null, s17, v11, vcc_lo
	v_lshlrev_b64 v[8:9], 2, v[40:41]
	v_add_nc_u32_e32 v40, s11, v40
	v_add_co_u32 v4, vcc_lo, s16, v4
	v_add_co_ci_u32_e64 v5, null, s17, v5, vcc_lo
	v_lshlrev_b64 v[10:11], 2, v[40:41]
	v_add_nc_u32_e32 v40, s11, v40
	v_add_co_u32 v8, vcc_lo, s16, v8
	v_add_co_ci_u32_e64 v9, null, s17, v9, vcc_lo
	global_store_dword v[6:7], v15, off
	global_store_dword v[4:5], v16, off
	v_lshlrev_b64 v[4:5], 2, v[40:41]
	v_add_nc_u32_e32 v40, s11, v40
	global_store_dword v[8:9], v17, off
	v_add_co_u32 v6, vcc_lo, s16, v10
	v_add_co_ci_u32_e64 v7, null, s17, v11, vcc_lo
	v_lshlrev_b64 v[8:9], 2, v[40:41]
	v_add_nc_u32_e32 v40, s11, v40
	v_add_co_u32 v4, vcc_lo, s16, v4
	v_add_co_ci_u32_e64 v5, null, s17, v5, vcc_lo
	v_lshlrev_b64 v[10:11], 2, v[40:41]
	v_add_nc_u32_e32 v40, s11, v40
	v_add_co_u32 v8, vcc_lo, s16, v8
	v_add_co_ci_u32_e64 v9, null, s17, v9, vcc_lo
	;; [unrolled: 15-line block ×7, first 2 shown]
	v_lshlrev_b64 v[12:13], 2, v[40:41]
	v_add_nc_u32_e32 v40, s11, v40
	v_add_co_u32 v10, vcc_lo, s16, v10
	v_add_co_ci_u32_e64 v11, null, s17, v11, vcc_lo
	v_lshlrev_b64 v[14:15], 2, v[40:41]
	v_add_nc_u32_e32 v40, s11, v40
	v_add_co_u32 v12, vcc_lo, s16, v12
	v_add_co_ci_u32_e64 v13, null, s17, v13, vcc_lo
	;; [unrolled: 4-line block ×5, first 2 shown]
	v_lshlrev_b64 v[22:23], 2, v[40:41]
	v_add_nc_u32_e32 v40, s11, v40
	v_add_co_u32 v20, vcc_lo, s16, v20
	v_mul_f32_e32 v0, 0.5, v1
	v_add_co_ci_u32_e64 v21, null, s17, v21, vcc_lo
	v_lshlrev_b64 v[24:25], 2, v[40:41]
	v_add_co_u32 v22, vcc_lo, s16, v22
	v_mul_f32_e32 v1, 0.5, v2
	v_mul_f32_e32 v2, 0.5, v3
	v_add_co_ci_u32_e64 v23, null, s17, v23, vcc_lo
	v_add_co_u32 v24, vcc_lo, s16, v24
	v_mul_f32_e32 v3, 0.5, v26
	v_mul_f32_e32 v26, 0.5, v27
	v_add_co_ci_u32_e64 v25, null, s17, v25, vcc_lo
	v_mul_f32_e32 v27, 0.5, v28
	v_mul_f32_e32 v28, 0.5, v29
	;; [unrolled: 1-line block ×6, first 2 shown]
	global_store_dword v[6:7], v0, off
	global_store_dword v[4:5], v1, off
	;; [unrolled: 1-line block ×11, first 2 shown]
.LBB5_32:
	s_endpgm
	.section	.rodata,"a",@progbits
	.p2align	6, 0x0
	.amdhsa_kernel _ZL11fasten_mainILm32EEviiPK4AtomS2_PKfS4_S4_S4_S4_S4_PfPK8FFParamsi
		.amdhsa_group_segment_fixed_size 0
		.amdhsa_private_segment_fixed_size 2960
		.amdhsa_kernarg_size 352
		.amdhsa_user_sgpr_count 6
		.amdhsa_user_sgpr_private_segment_buffer 1
		.amdhsa_user_sgpr_dispatch_ptr 0
		.amdhsa_user_sgpr_queue_ptr 0
		.amdhsa_user_sgpr_kernarg_segment_ptr 1
		.amdhsa_user_sgpr_dispatch_id 0
		.amdhsa_user_sgpr_flat_scratch_init 0
		.amdhsa_user_sgpr_private_segment_size 0
		.amdhsa_wavefront_size32 1
		.amdhsa_uses_dynamic_stack 0
		.amdhsa_system_sgpr_private_segment_wavefront_offset 1
		.amdhsa_system_sgpr_workgroup_id_x 1
		.amdhsa_system_sgpr_workgroup_id_y 0
		.amdhsa_system_sgpr_workgroup_id_z 0
		.amdhsa_system_sgpr_workgroup_info 0
		.amdhsa_system_vgpr_workitem_id 0
		.amdhsa_next_free_vgpr 128
		.amdhsa_next_free_sgpr 35
		.amdhsa_reserve_vcc 1
		.amdhsa_reserve_flat_scratch 0
		.amdhsa_float_round_mode_32 0
		.amdhsa_float_round_mode_16_64 0
		.amdhsa_float_denorm_mode_32 3
		.amdhsa_float_denorm_mode_16_64 3
		.amdhsa_dx10_clamp 1
		.amdhsa_ieee_mode 1
		.amdhsa_fp16_overflow 0
		.amdhsa_workgroup_processor_mode 1
		.amdhsa_memory_ordered 1
		.amdhsa_forward_progress 1
		.amdhsa_shared_vgpr_count 0
		.amdhsa_exception_fp_ieee_invalid_op 0
		.amdhsa_exception_fp_denorm_src 0
		.amdhsa_exception_fp_ieee_div_zero 0
		.amdhsa_exception_fp_ieee_overflow 0
		.amdhsa_exception_fp_ieee_underflow 0
		.amdhsa_exception_fp_ieee_inexact 0
		.amdhsa_exception_int_div_zero 0
	.end_amdhsa_kernel
	.section	.text._ZL11fasten_mainILm32EEviiPK4AtomS2_PKfS4_S4_S4_S4_S4_PfPK8FFParamsi,"axG",@progbits,_ZL11fasten_mainILm32EEviiPK4AtomS2_PKfS4_S4_S4_S4_S4_PfPK8FFParamsi,comdat
.Lfunc_end5:
	.size	_ZL11fasten_mainILm32EEviiPK4AtomS2_PKfS4_S4_S4_S4_S4_PfPK8FFParamsi, .Lfunc_end5-_ZL11fasten_mainILm32EEviiPK4AtomS2_PKfS4_S4_S4_S4_S4_PfPK8FFParamsi
                                        ; -- End function
	.set _ZL11fasten_mainILm32EEviiPK4AtomS2_PKfS4_S4_S4_S4_S4_PfPK8FFParamsi.num_vgpr, 128
	.set _ZL11fasten_mainILm32EEviiPK4AtomS2_PKfS4_S4_S4_S4_S4_PfPK8FFParamsi.num_agpr, 0
	.set _ZL11fasten_mainILm32EEviiPK4AtomS2_PKfS4_S4_S4_S4_S4_PfPK8FFParamsi.numbered_sgpr, 35
	.set _ZL11fasten_mainILm32EEviiPK4AtomS2_PKfS4_S4_S4_S4_S4_PfPK8FFParamsi.num_named_barrier, 0
	.set _ZL11fasten_mainILm32EEviiPK4AtomS2_PKfS4_S4_S4_S4_S4_PfPK8FFParamsi.private_seg_size, 2960
	.set _ZL11fasten_mainILm32EEviiPK4AtomS2_PKfS4_S4_S4_S4_S4_PfPK8FFParamsi.uses_vcc, 1
	.set _ZL11fasten_mainILm32EEviiPK4AtomS2_PKfS4_S4_S4_S4_S4_PfPK8FFParamsi.uses_flat_scratch, 0
	.set _ZL11fasten_mainILm32EEviiPK4AtomS2_PKfS4_S4_S4_S4_S4_PfPK8FFParamsi.has_dyn_sized_stack, 0
	.set _ZL11fasten_mainILm32EEviiPK4AtomS2_PKfS4_S4_S4_S4_S4_PfPK8FFParamsi.has_recursion, 0
	.set _ZL11fasten_mainILm32EEviiPK4AtomS2_PKfS4_S4_S4_S4_S4_PfPK8FFParamsi.has_indirect_call, 0
	.section	.AMDGPU.csdata,"",@progbits
; Kernel info:
; codeLenInByte = 28144
; TotalNumSgprs: 37
; NumVgprs: 128
; ScratchSize: 2960
; MemoryBound: 0
; FloatMode: 240
; IeeeMode: 1
; LDSByteSize: 0 bytes/workgroup (compile time only)
; SGPRBlocks: 0
; VGPRBlocks: 15
; NumSGPRsForWavesPerEU: 37
; NumVGPRsForWavesPerEU: 128
; Occupancy: 8
; WaveLimiterHint : 1
; COMPUTE_PGM_RSRC2:SCRATCH_EN: 1
; COMPUTE_PGM_RSRC2:USER_SGPR: 6
; COMPUTE_PGM_RSRC2:TRAP_HANDLER: 0
; COMPUTE_PGM_RSRC2:TGID_X_EN: 1
; COMPUTE_PGM_RSRC2:TGID_Y_EN: 0
; COMPUTE_PGM_RSRC2:TGID_Z_EN: 0
; COMPUTE_PGM_RSRC2:TIDIG_COMP_CNT: 0
	.section	.text._ZL11fasten_mainILm64EEviiPK4AtomS2_PKfS4_S4_S4_S4_S4_PfPK8FFParamsi,"axG",@progbits,_ZL11fasten_mainILm64EEviiPK4AtomS2_PKfS4_S4_S4_S4_S4_PfPK8FFParamsi,comdat
	.globl	_ZL11fasten_mainILm64EEviiPK4AtomS2_PKfS4_S4_S4_S4_S4_PfPK8FFParamsi ; -- Begin function _ZL11fasten_mainILm64EEviiPK4AtomS2_PKfS4_S4_S4_S4_S4_PfPK8FFParamsi
	.p2align	8
	.type	_ZL11fasten_mainILm64EEviiPK4AtomS2_PKfS4_S4_S4_S4_S4_PfPK8FFParamsi,@function
_ZL11fasten_mainILm64EEviiPK4AtomS2_PKfS4_S4_S4_S4_S4_PfPK8FFParamsi: ; @_ZL11fasten_mainILm64EEviiPK4AtomS2_PKfS4_S4_S4_S4_S4_PfPK8FFParamsi
; %bb.0:
	s_add_u32 s0, s0, s7
	s_clause 0x1
	s_load_dword s7, s[4:5], 0x6c
	s_load_dword s8, s[4:5], 0x58
	s_addc_u32 s1, s1, 0
	s_load_dwordx16 s[12:27], s[4:5], 0x8
	v_mov_b32_e32 v3, 0
	s_mov_b32 s9, 0
	s_movk_i32 s28, 0x110
	s_mov_b32 s29, 0x7fffff
	s_mov_b32 s30, 0xb94c1982
	;; [unrolled: 1-line block ×3, first 2 shown]
	s_waitcnt lgkmcnt(0)
	s_and_b32 s11, s7, 0xffff
	s_sub_i32 s7, s8, 64
	s_mul_i32 s6, s6, s11
	s_lshl_b32 s10, s11, 2
	v_lshl_add_u32 v1, s6, 6, v0
	v_mov_b32_e32 v0, v1
	v_cmp_gt_i32_e64 s6, s8, v1
	s_mov_b32 s8, 0x28280
	buffer_store_dword v0, off, s[0:3], s8  ; 4-byte Folded Spill
	buffer_store_dword v1, off, s[0:3], s8 offset:4 ; 4-byte Folded Spill
	v_cndmask_b32_e64 v0, s7, v1, s6
	v_ashrrev_i32_e32 v1, 31, v0
	v_lshlrev_b64 v[0:1], 2, v[0:1]
	s_branch .LBB6_2
.LBB6_1:                                ;   in Loop: Header=BB6_2 Depth=1
	s_or_b32 exec_lo, exec_lo, s7
	v_add_co_u32 v20, vcc_lo, s22, v0
	v_add_co_ci_u32_e64 v21, null, s23, v1, vcc_lo
	v_add_co_u32 v23, vcc_lo, s24, v0
	v_add_co_ci_u32_e64 v24, null, s25, v1, vcc_lo
	;; [unrolled: 2-line block ×3, first 2 shown]
	global_load_dword v20, v[20:21], off
	global_load_dword v21, v[23:24], off
	;; [unrolled: 1-line block ×3, first 2 shown]
	v_mul_f32_e32 v24, v18, v18
	v_mul_f32_e32 v26, v14, v14
	;; [unrolled: 1-line block ×3, first 2 shown]
	v_and_b32_e32 v25, 1, v19
	v_mul_f32_e32 v30, v8, v8
	v_fmaak_f32 v38, s30, v24, 0x3c0881c4
	v_fmaak_f32 v39, s31, v24, 0xbab64f3b
	;; [unrolled: 1-line block ×10, first 2 shown]
	v_mul_f32_e32 v38, v24, v38
	v_fmaak_f32 v39, v24, v39, 0xbf000004
	v_and_b32_e32 v27, 1, v16
	v_mul_f32_e32 v32, v6, v6
	v_fmaak_f32 v44, s30, v30, 0x3c0881c4
	v_fmaak_f32 v45, s31, v30, 0xbab64f3b
	;; [unrolled: 1-line block ×4, first 2 shown]
	v_mul_f32_e32 v40, v26, v40
	v_fmaak_f32 v41, v26, v41, 0xbf000004
	v_fmac_f32_e32 v18, v18, v38
	v_fma_f32 v24, v24, v39, 1.0
	v_cmp_eq_u32_e32 vcc_lo, 0, v25
	v_and_b32_e32 v29, 1, v13
	v_mul_f32_e32 v34, v2, v2
	v_fmaak_f32 v46, s30, v32, 0x3c0881c4
	v_fmaak_f32 v47, s31, v32, 0xbab64f3b
	;; [unrolled: 1-line block ×4, first 2 shown]
	v_mul_f32_e32 v42, v28, v42
	v_fmaak_f32 v43, v28, v43, 0xbf000004
	v_fmac_f32_e32 v14, v14, v40
	v_fma_f32 v26, v26, v41, 1.0
	v_cndmask_b32_e32 v18, v24, v18, vcc_lo
	v_cmp_eq_u32_e32 vcc_lo, 0, v27
	v_and_b32_e32 v31, 1, v10
	v_fmaak_f32 v48, s30, v34, 0x3c0881c4
	v_fmaak_f32 v49, s31, v34, 0xbab64f3b
	;; [unrolled: 1-line block ×4, first 2 shown]
	v_mul_f32_e32 v44, v30, v44
	v_fmaak_f32 v45, v30, v45, 0xbf000004
	v_fmac_f32_e32 v12, v12, v42
	v_fma_f32 v28, v28, v43, 1.0
	v_cndmask_b32_e64 v14, -v14, v26, vcc_lo
	v_cmp_eq_u32_e32 vcc_lo, 0, v29
	v_and_b32_e32 v33, 1, v7
	v_fmaak_f32 v48, v34, v48, 0xbe2aaa9d
	v_fmaak_f32 v49, v34, v49, 0x3d2aabf7
	v_mul_f32_e32 v46, v32, v46
	v_fmaak_f32 v47, v32, v47, 0xbf000004
	v_fmac_f32_e32 v8, v8, v44
	v_fma_f32 v30, v30, v45, 1.0
	v_cndmask_b32_e32 v12, v28, v12, vcc_lo
	v_cmp_eq_u32_e32 vcc_lo, 0, v31
	v_and_b32_e32 v35, 1, v22
	v_mul_f32_e32 v48, v34, v48
	v_fmaak_f32 v49, v34, v49, 0xbf000004
	v_fmac_f32_e32 v6, v6, v46
	v_fma_f32 v32, v32, v47, 1.0
	v_cndmask_b32_e64 v8, -v8, v30, vcc_lo
	v_cmp_eq_u32_e32 vcc_lo, 0, v33
	v_lshlrev_b32_e32 v19, 30, v19
	v_lshlrev_b32_e32 v13, 30, v13
	;; [unrolled: 1-line block ×5, first 2 shown]
	v_fmac_f32_e32 v2, v2, v48
	v_fma_f32 v34, v34, v49, 1.0
	v_cndmask_b32_e32 v6, v32, v6, vcc_lo
	v_cmp_eq_u32_e32 vcc_lo, 0, v35
	v_lshlrev_b32_e32 v16, 30, v16
	v_xor_b32_e32 v17, v17, v15
	v_xor_b32_e32 v11, v11, v9
	;; [unrolled: 1-line block ×3, first 2 shown]
	v_and_b32_e32 v19, 0x80000000, v19
	v_and_b32_e32 v13, 0x80000000, v13
	;; [unrolled: 1-line block ×5, first 2 shown]
	v_cndmask_b32_e64 v2, -v2, v34, vcc_lo
	v_and_b32_e32 v16, 0x80000000, v16
	v_xor3_b32 v17, v17, v19, v18
	v_cmp_class_f32_e64 vcc_lo, v9, 0x1f8
	v_xor3_b32 v9, v11, v13, v12
	v_xor_b32_e32 v8, v10, v8
	v_cmp_class_f32_e64 s7, v4, 0x1f8
	v_xor3_b32 v4, v5, v7, v6
	v_cmp_class_f32_e64 s8, v15, 0x1f8
	v_xor_b32_e32 v2, v22, v2
	v_xor_b32_e32 v14, v16, v14
	v_cndmask_b32_e32 v7, 0x7fc00000, v9, vcc_lo
	v_cndmask_b32_e64 v8, 0x7fc00000, v8, s7
	v_cndmask_b32_e64 v5, 0x7fc00000, v17, s8
	;; [unrolled: 1-line block ×3, first 2 shown]
	v_add_nc_u32_e64 v37, s9, 16
	s_add_i32 s9, s9, 4
	s_add_u32 s16, s16, s10
	s_addc_u32 s17, s17, 0
	v_cndmask_b32_e64 v2, 0x7fc00000, v2, s8
	s_add_u32 s18, s18, s10
	v_cndmask_b32_e32 v6, 0x7fc00000, v14, vcc_lo
	s_addc_u32 s19, s19, 0
	v_mul_f32_e32 v10, v4, v7
	v_mul_f32_e32 v11, v8, v5
	;; [unrolled: 1-line block ×3, first 2 shown]
	s_add_u32 s20, s20, s10
	s_addc_u32 s21, s21, 0
	s_add_u32 s22, s22, s10
	v_mul_f32_e32 v14, v8, v2
	v_mov_b32_e32 v36, s28
	s_addc_u32 s23, s23, 0
	v_mul_f32_e32 v9, v6, v2
	v_mul_f32_e32 v15, v4, v2
	s_add_u32 s24, s24, s10
	v_mul_f32_e32 v13, v6, v5
	v_mul_f32_e32 v16, v4, v6
	;; [unrolled: 1-line block ×3, first 2 shown]
	v_fma_f32 v8, v10, v2, -v11
	v_mul_f32_e32 v2, v12, v2
	s_addc_u32 s25, s25, 0
	v_xor_b32_e32 v7, 0x80000000, v7
	s_add_u32 s26, s26, s10
	s_addc_u32 s27, s27, 0
	s_add_i32 s28, s28, 48
	v_fmac_f32_e32 v14, v10, v5
	s_cmpk_lg_i32 s9, 0x100
	buffer_store_dword v9, v36, s[0:3], 0 offen
	v_fma_f32 v9, v12, v5, -v15
	v_fmac_f32_e32 v2, v4, v5
	buffer_store_dword v13, v36, s[0:3], 0 offen offset:16
	buffer_store_dword v7, v36, s[0:3], 0 offen offset:32
	;; [unrolled: 1-line block ×8, first 2 shown]
	s_waitcnt vmcnt(2)
	buffer_store_dword v20, v36, s[0:3], 0 offen offset:12
	s_waitcnt vmcnt(1)
	buffer_store_dword v21, v36, s[0:3], 0 offen offset:28
	;; [unrolled: 2-line block ×3, first 2 shown]
	buffer_store_dword v3, v37, s[0:3], 0 offen
	s_cbranch_scc0 .LBB6_26
.LBB6_2:                                ; =>This Inner Loop Header: Depth=1
	v_add_co_u32 v4, vcc_lo, s16, v0
	v_add_co_ci_u32_e64 v5, null, s17, v1, vcc_lo
                                        ; implicit-def: $vgpr7
                                        ; implicit-def: $vgpr6
	global_load_dword v4, v[4:5], off
	s_waitcnt vmcnt(0)
	v_and_b32_e32 v5, 0x7fffffff, v4
	v_cmp_ngt_f32_e64 s33, 0x48000000, |v4|
	v_lshrrev_b32_e32 v2, 23, v5
	v_and_or_b32 v9, v5, s29, 0x800000
	v_add_nc_u32_e32 v11, 0xffffff88, v2
	s_and_saveexec_b32 s7, s33
	s_xor_b32 s34, exec_lo, s7
	s_cbranch_execz .LBB6_4
; %bb.3:                                ;   in Loop: Header=BB6_2 Depth=1
	v_mad_u64_u32 v[6:7], null, 0xfe5163ab, v9, 0
	v_cmp_lt_u32_e32 vcc_lo, 63, v11
	v_mov_b32_e32 v2, v7
	v_mad_u64_u32 v[7:8], null, 0x3c439041, v9, v[2:3]
	v_mov_b32_e32 v2, v8
	v_cndmask_b32_e64 v8, 0, 0xffffffc0, vcc_lo
	v_mad_u64_u32 v[12:13], null, 0xdb629599, v9, v[2:3]
	v_add_nc_u32_e32 v8, v8, v11
	v_cmp_lt_u32_e64 s7, 31, v8
	v_mov_b32_e32 v2, v13
	v_cndmask_b32_e32 v6, v12, v6, vcc_lo
	v_cndmask_b32_e64 v10, 0, 0xffffffe0, s7
	v_mad_u64_u32 v[13:14], null, 0xf534ddc0, v9, v[2:3]
	v_add_nc_u32_e32 v8, v10, v8
	v_mov_b32_e32 v2, v14
	v_cmp_lt_u32_e64 s8, 31, v8
	v_cndmask_b32_e32 v7, v13, v7, vcc_lo
	v_mad_u64_u32 v[14:15], null, 0xfc2757d1, v9, v[2:3]
	v_cndmask_b32_e64 v6, v7, v6, s7
	v_mov_b32_e32 v2, v15
	v_mad_u64_u32 v[15:16], null, 0x4e441529, v9, v[2:3]
	v_mov_b32_e32 v2, v16
	v_cndmask_b32_e32 v10, v15, v13, vcc_lo
	v_mad_u64_u32 v[16:17], null, 0xa2f9836e, v9, v[2:3]
	v_cndmask_b32_e64 v2, 0, 0xffffffe0, s8
	v_add_nc_u32_e32 v2, v2, v8
	v_cndmask_b32_e32 v16, v16, v14, vcc_lo
	v_cndmask_b32_e32 v15, v17, v15, vcc_lo
	;; [unrolled: 1-line block ×3, first 2 shown]
	v_cmp_eq_u32_e32 vcc_lo, 0, v2
	v_cndmask_b32_e64 v8, v16, v10, s7
	v_cndmask_b32_e64 v13, v15, v16, s7
	;; [unrolled: 1-line block ×3, first 2 shown]
	v_sub_nc_u32_e32 v15, 32, v2
	v_cndmask_b32_e64 v14, v14, v7, s7
	v_cndmask_b32_e64 v13, v13, v8, s8
	;; [unrolled: 1-line block ×5, first 2 shown]
	v_alignbit_b32 v16, v13, v8, v15
	v_alignbit_b32 v12, v8, v10, v15
	;; [unrolled: 1-line block ×3, first 2 shown]
	v_cndmask_b32_e32 v2, v16, v13, vcc_lo
	v_cndmask_b32_e32 v7, v12, v8, vcc_lo
	;; [unrolled: 1-line block ×3, first 2 shown]
	v_bfe_u32 v8, v2, 29, 1
	v_alignbit_b32 v12, v2, v7, 30
	v_alignbit_b32 v7, v7, v10, 30
	;; [unrolled: 1-line block ×3, first 2 shown]
	v_sub_nc_u32_e32 v13, 0, v8
	v_xor_b32_e32 v12, v12, v13
	v_xor_b32_e32 v7, v7, v13
	;; [unrolled: 1-line block ×3, first 2 shown]
	v_lshrrev_b32_e32 v13, 29, v2
	v_lshrrev_b32_e32 v2, 30, v2
	v_ffbh_u32_e32 v14, v12
	v_min_u32_e32 v14, 32, v14
	v_sub_nc_u32_e32 v10, 31, v14
	v_lshlrev_b32_e32 v15, 23, v14
	v_alignbit_b32 v12, v12, v7, v10
	v_alignbit_b32 v6, v7, v6, v10
	v_lshlrev_b32_e32 v7, 31, v13
	v_alignbit_b32 v10, v12, v6, 9
	v_or_b32_e32 v13, 0.5, v7
	v_lshrrev_b32_e32 v12, 9, v12
	v_or_b32_e32 v7, 0x33000000, v7
	v_ffbh_u32_e32 v16, v10
	v_sub_nc_u32_e32 v13, v13, v15
	v_min_u32_e32 v15, 32, v16
	v_or_b32_e32 v12, v12, v13
	v_not_b32_e32 v13, v15
	v_mul_f32_e32 v16, 0x3fc90fda, v12
	v_add_lshl_u32 v14, v15, v14, 23
	v_alignbit_b32 v6, v10, v6, v13
	v_fma_f32 v10, 0x3fc90fda, v12, -v16
	v_sub_nc_u32_e32 v7, v7, v14
	v_lshrrev_b32_e32 v6, 9, v6
	v_fmac_f32_e32 v10, 0x33a22168, v12
	v_or_b32_e32 v6, v7, v6
	v_add_nc_u32_e32 v7, v8, v2
	v_fmac_f32_e32 v10, 0x3fc90fda, v6
	v_add_f32_e32 v6, v16, v10
.LBB6_4:                                ;   in Loop: Header=BB6_2 Depth=1
	s_or_saveexec_b32 s7, s34
	v_mul_f32_e64 v2, 0x3f22f983, |v4|
	v_rndne_f32_e32 v2, v2
	s_xor_b32 exec_lo, exec_lo, s7
; %bb.5:                                ;   in Loop: Header=BB6_2 Depth=1
	v_fma_f32 v6, 0xbfc90fda, v2, |v4|
	v_cvt_i32_f32_e32 v7, v2
	v_fmac_f32_e32 v6, 0xb3a22168, v2
	v_fmac_f32_e32 v6, 0xa7c234c4, v2
; %bb.6:                                ;   in Loop: Header=BB6_2 Depth=1
	s_or_b32 exec_lo, exec_lo, s7
                                        ; implicit-def: $vgpr10
                                        ; implicit-def: $vgpr8
	s_and_saveexec_b32 s7, s33
	s_xor_b32 s33, exec_lo, s7
	s_cbranch_execz .LBB6_8
; %bb.7:                                ;   in Loop: Header=BB6_2 Depth=1
	v_mad_u64_u32 v[12:13], null, 0xfe5163ab, v9, 0
	v_cmp_lt_u32_e32 vcc_lo, 63, v11
	v_cndmask_b32_e64 v8, 0, 0xffffffc0, vcc_lo
	v_mov_b32_e32 v2, v13
	v_add_nc_u32_e32 v8, v8, v11
	v_mad_u64_u32 v[13:14], null, 0x3c439041, v9, v[2:3]
	v_cmp_lt_u32_e64 s7, 31, v8
	v_mov_b32_e32 v2, v14
	v_mad_u64_u32 v[14:15], null, 0xdb629599, v9, v[2:3]
	v_mov_b32_e32 v2, v15
	v_cndmask_b32_e32 v12, v14, v12, vcc_lo
	v_mad_u64_u32 v[15:16], null, 0xf534ddc0, v9, v[2:3]
	v_mov_b32_e32 v2, v16
	v_mad_u64_u32 v[16:17], null, 0xfc2757d1, v9, v[2:3]
	v_mov_b32_e32 v2, v17
	v_cndmask_b32_e64 v17, 0, 0xffffffe0, s7
	v_mad_u64_u32 v[10:11], null, 0x4e441529, v9, v[2:3]
	v_mov_b32_e32 v2, v11
	v_add_nc_u32_e32 v11, v17, v8
	v_cndmask_b32_e32 v17, v10, v15, vcc_lo
	v_mad_u64_u32 v[8:9], null, 0xa2f9836e, v9, v[2:3]
	v_cmp_lt_u32_e64 s8, 31, v11
	v_cndmask_b32_e64 v2, 0, 0xffffffe0, s8
	v_cndmask_b32_e32 v8, v8, v16, vcc_lo
	v_cndmask_b32_e32 v9, v9, v10, vcc_lo
	v_cndmask_b32_e32 v10, v16, v14, vcc_lo
	v_add_nc_u32_e32 v2, v2, v11
	v_cndmask_b32_e32 v11, v15, v13, vcc_lo
	v_cndmask_b32_e64 v13, v8, v17, s7
	v_cndmask_b32_e64 v8, v9, v8, s7
	;; [unrolled: 1-line block ×3, first 2 shown]
	v_sub_nc_u32_e32 v15, 32, v2
	v_cndmask_b32_e64 v10, v10, v11, s7
	v_cmp_eq_u32_e32 vcc_lo, 0, v2
	v_cndmask_b32_e64 v8, v8, v13, s8
	v_cndmask_b32_e64 v13, v13, v9, s8
	;; [unrolled: 1-line block ×3, first 2 shown]
	v_alignbit_b32 v16, v8, v13, v15
	v_alignbit_b32 v14, v13, v9, v15
	v_cndmask_b32_e32 v2, v16, v8, vcc_lo
	v_cndmask_b32_e64 v8, v11, v12, s7
	v_cndmask_b32_e32 v11, v14, v13, vcc_lo
	v_bfe_u32 v12, v2, 29, 1
	v_cndmask_b32_e64 v8, v10, v8, s8
	v_alignbit_b32 v10, v2, v11, 30
	v_sub_nc_u32_e32 v13, 0, v12
	v_alignbit_b32 v14, v9, v8, v15
	v_xor_b32_e32 v10, v10, v13
	v_cndmask_b32_e32 v9, v14, v9, vcc_lo
	v_ffbh_u32_e32 v14, v10
	v_alignbit_b32 v11, v11, v9, 30
	v_alignbit_b32 v8, v9, v8, 30
	v_min_u32_e32 v14, 32, v14
	v_xor_b32_e32 v9, v11, v13
	v_xor_b32_e32 v8, v8, v13
	v_lshrrev_b32_e32 v13, 29, v2
	v_lshrrev_b32_e32 v2, 30, v2
	v_sub_nc_u32_e32 v11, 31, v14
	v_lshlrev_b32_e32 v15, 23, v14
	v_alignbit_b32 v10, v10, v9, v11
	v_alignbit_b32 v8, v9, v8, v11
	v_lshlrev_b32_e32 v9, 31, v13
	v_alignbit_b32 v11, v10, v8, 9
	v_or_b32_e32 v13, 0.5, v9
	v_lshrrev_b32_e32 v10, 9, v10
	v_or_b32_e32 v9, 0x33000000, v9
	v_ffbh_u32_e32 v16, v11
	v_sub_nc_u32_e32 v13, v13, v15
	v_min_u32_e32 v15, 32, v16
	v_or_b32_e32 v10, v10, v13
	v_not_b32_e32 v13, v15
	v_mul_f32_e32 v16, 0x3fc90fda, v10
	v_add_lshl_u32 v14, v15, v14, 23
	v_alignbit_b32 v8, v11, v8, v13
	v_fma_f32 v11, 0x3fc90fda, v10, -v16
	v_sub_nc_u32_e32 v9, v9, v14
	v_lshrrev_b32_e32 v8, 9, v8
	v_fmac_f32_e32 v11, 0x33a22168, v10
	v_add_nc_u32_e32 v10, v12, v2
                                        ; implicit-def: $vgpr2
	v_or_b32_e32 v8, v9, v8
	v_fmac_f32_e32 v11, 0x3fc90fda, v8
	v_add_f32_e32 v8, v16, v11
	s_andn2_saveexec_b32 s7, s33
	s_cbranch_execnz .LBB6_9
	s_branch .LBB6_10
.LBB6_8:                                ;   in Loop: Header=BB6_2 Depth=1
	s_andn2_saveexec_b32 s7, s33
.LBB6_9:                                ;   in Loop: Header=BB6_2 Depth=1
	v_fma_f32 v8, 0xbfc90fda, v2, |v4|
	v_cvt_i32_f32_e32 v10, v2
	v_fmac_f32_e32 v8, 0xb3a22168, v2
	v_fmac_f32_e32 v8, 0xa7c234c4, v2
.LBB6_10:                               ;   in Loop: Header=BB6_2 Depth=1
	s_or_b32 exec_lo, exec_lo, s7
	v_add_co_u32 v11, vcc_lo, s18, v0
	v_add_co_ci_u32_e64 v12, null, s19, v1, vcc_lo
                                        ; implicit-def: $vgpr13
	global_load_dword v9, v[11:12], off
                                        ; implicit-def: $vgpr12
	s_waitcnt vmcnt(0)
	v_and_b32_e32 v11, 0x7fffffff, v9
	v_cmp_ngt_f32_e64 s33, 0x48000000, |v9|
	v_lshrrev_b32_e32 v2, 23, v11
	v_and_or_b32 v15, v11, s29, 0x800000
	v_add_nc_u32_e32 v17, 0xffffff88, v2
	s_and_saveexec_b32 s7, s33
	s_xor_b32 s34, exec_lo, s7
	s_cbranch_execz .LBB6_12
; %bb.11:                               ;   in Loop: Header=BB6_2 Depth=1
	v_mad_u64_u32 v[12:13], null, 0xfe5163ab, v15, 0
	v_cmp_lt_u32_e32 vcc_lo, 63, v17
	v_mov_b32_e32 v2, v13
	v_mad_u64_u32 v[13:14], null, 0x3c439041, v15, v[2:3]
	v_mov_b32_e32 v2, v14
	v_cndmask_b32_e64 v14, 0, 0xffffffc0, vcc_lo
	v_mad_u64_u32 v[18:19], null, 0xdb629599, v15, v[2:3]
	v_add_nc_u32_e32 v14, v14, v17
	v_cmp_lt_u32_e64 s7, 31, v14
	v_mov_b32_e32 v2, v19
	v_cndmask_b32_e32 v12, v18, v12, vcc_lo
	v_cndmask_b32_e64 v16, 0, 0xffffffe0, s7
	v_mad_u64_u32 v[19:20], null, 0xf534ddc0, v15, v[2:3]
	v_add_nc_u32_e32 v14, v16, v14
	v_mov_b32_e32 v2, v20
	v_cmp_lt_u32_e64 s8, 31, v14
	v_cndmask_b32_e32 v13, v19, v13, vcc_lo
	v_mad_u64_u32 v[20:21], null, 0xfc2757d1, v15, v[2:3]
	v_cndmask_b32_e64 v12, v13, v12, s7
	v_mov_b32_e32 v2, v21
	v_mad_u64_u32 v[21:22], null, 0x4e441529, v15, v[2:3]
	v_mov_b32_e32 v2, v22
	v_cndmask_b32_e32 v16, v21, v19, vcc_lo
	v_mad_u64_u32 v[22:23], null, 0xa2f9836e, v15, v[2:3]
	v_cndmask_b32_e64 v2, 0, 0xffffffe0, s8
	v_add_nc_u32_e32 v2, v2, v14
	v_cndmask_b32_e32 v22, v22, v20, vcc_lo
	v_cndmask_b32_e32 v21, v23, v21, vcc_lo
	;; [unrolled: 1-line block ×3, first 2 shown]
	v_cmp_eq_u32_e32 vcc_lo, 0, v2
	v_cndmask_b32_e64 v14, v22, v16, s7
	v_cndmask_b32_e64 v19, v21, v22, s7
	;; [unrolled: 1-line block ×3, first 2 shown]
	v_sub_nc_u32_e32 v21, 32, v2
	v_cndmask_b32_e64 v20, v20, v13, s7
	v_cndmask_b32_e64 v19, v19, v14, s8
	;; [unrolled: 1-line block ×5, first 2 shown]
	v_alignbit_b32 v22, v19, v14, v21
	v_alignbit_b32 v18, v14, v16, v21
	;; [unrolled: 1-line block ×3, first 2 shown]
	v_cndmask_b32_e32 v2, v22, v19, vcc_lo
	v_cndmask_b32_e32 v13, v18, v14, vcc_lo
	;; [unrolled: 1-line block ×3, first 2 shown]
	v_bfe_u32 v14, v2, 29, 1
	v_alignbit_b32 v18, v2, v13, 30
	v_alignbit_b32 v13, v13, v16, 30
	;; [unrolled: 1-line block ×3, first 2 shown]
	v_sub_nc_u32_e32 v19, 0, v14
	v_xor_b32_e32 v18, v18, v19
	v_xor_b32_e32 v13, v13, v19
	;; [unrolled: 1-line block ×3, first 2 shown]
	v_lshrrev_b32_e32 v19, 29, v2
	v_lshrrev_b32_e32 v2, 30, v2
	v_ffbh_u32_e32 v20, v18
	v_min_u32_e32 v20, 32, v20
	v_sub_nc_u32_e32 v16, 31, v20
	v_lshlrev_b32_e32 v21, 23, v20
	v_alignbit_b32 v18, v18, v13, v16
	v_alignbit_b32 v12, v13, v12, v16
	v_lshlrev_b32_e32 v13, 31, v19
	v_alignbit_b32 v16, v18, v12, 9
	v_or_b32_e32 v19, 0.5, v13
	v_lshrrev_b32_e32 v18, 9, v18
	v_or_b32_e32 v13, 0x33000000, v13
	v_ffbh_u32_e32 v22, v16
	v_sub_nc_u32_e32 v19, v19, v21
	v_min_u32_e32 v21, 32, v22
	v_or_b32_e32 v18, v18, v19
	v_not_b32_e32 v19, v21
	v_mul_f32_e32 v22, 0x3fc90fda, v18
	v_add_lshl_u32 v20, v21, v20, 23
	v_alignbit_b32 v12, v16, v12, v19
	v_fma_f32 v16, 0x3fc90fda, v18, -v22
	v_sub_nc_u32_e32 v13, v13, v20
	v_lshrrev_b32_e32 v12, 9, v12
	v_fmac_f32_e32 v16, 0x33a22168, v18
	v_or_b32_e32 v12, v13, v12
	v_add_nc_u32_e32 v13, v14, v2
	v_fmac_f32_e32 v16, 0x3fc90fda, v12
	v_add_f32_e32 v12, v22, v16
.LBB6_12:                               ;   in Loop: Header=BB6_2 Depth=1
	s_or_saveexec_b32 s7, s34
	v_mul_f32_e64 v2, 0x3f22f983, |v9|
	v_rndne_f32_e32 v2, v2
	s_xor_b32 exec_lo, exec_lo, s7
; %bb.13:                               ;   in Loop: Header=BB6_2 Depth=1
	v_fma_f32 v12, 0xbfc90fda, v2, |v9|
	v_cvt_i32_f32_e32 v13, v2
	v_fmac_f32_e32 v12, 0xb3a22168, v2
	v_fmac_f32_e32 v12, 0xa7c234c4, v2
; %bb.14:                               ;   in Loop: Header=BB6_2 Depth=1
	s_or_b32 exec_lo, exec_lo, s7
                                        ; implicit-def: $vgpr16
                                        ; implicit-def: $vgpr14
	s_and_saveexec_b32 s7, s33
	s_xor_b32 s33, exec_lo, s7
	s_cbranch_execz .LBB6_16
; %bb.15:                               ;   in Loop: Header=BB6_2 Depth=1
	v_mad_u64_u32 v[18:19], null, 0xfe5163ab, v15, 0
	v_cmp_lt_u32_e32 vcc_lo, 63, v17
	v_cndmask_b32_e64 v14, 0, 0xffffffc0, vcc_lo
	v_mov_b32_e32 v2, v19
	v_add_nc_u32_e32 v14, v14, v17
	v_mad_u64_u32 v[19:20], null, 0x3c439041, v15, v[2:3]
	v_cmp_lt_u32_e64 s7, 31, v14
	v_mov_b32_e32 v2, v20
	v_mad_u64_u32 v[20:21], null, 0xdb629599, v15, v[2:3]
	v_mov_b32_e32 v2, v21
	v_cndmask_b32_e32 v18, v20, v18, vcc_lo
	v_mad_u64_u32 v[21:22], null, 0xf534ddc0, v15, v[2:3]
	v_mov_b32_e32 v2, v22
	v_mad_u64_u32 v[22:23], null, 0xfc2757d1, v15, v[2:3]
	v_mov_b32_e32 v2, v23
	v_cndmask_b32_e64 v23, 0, 0xffffffe0, s7
	v_mad_u64_u32 v[16:17], null, 0x4e441529, v15, v[2:3]
	v_mov_b32_e32 v2, v17
	v_add_nc_u32_e32 v17, v23, v14
	v_cndmask_b32_e32 v23, v16, v21, vcc_lo
	v_mad_u64_u32 v[14:15], null, 0xa2f9836e, v15, v[2:3]
	v_cmp_lt_u32_e64 s8, 31, v17
	v_cndmask_b32_e64 v2, 0, 0xffffffe0, s8
	v_cndmask_b32_e32 v14, v14, v22, vcc_lo
	v_cndmask_b32_e32 v15, v15, v16, vcc_lo
	v_cndmask_b32_e32 v16, v22, v20, vcc_lo
	v_add_nc_u32_e32 v2, v2, v17
	v_cndmask_b32_e32 v17, v21, v19, vcc_lo
	v_cndmask_b32_e64 v19, v14, v23, s7
	v_cndmask_b32_e64 v14, v15, v14, s7
	;; [unrolled: 1-line block ×3, first 2 shown]
	v_sub_nc_u32_e32 v21, 32, v2
	v_cndmask_b32_e64 v16, v16, v17, s7
	v_cmp_eq_u32_e32 vcc_lo, 0, v2
	v_cndmask_b32_e64 v14, v14, v19, s8
	v_cndmask_b32_e64 v19, v19, v15, s8
	v_cndmask_b32_e64 v15, v15, v16, s8
	v_alignbit_b32 v22, v14, v19, v21
	v_alignbit_b32 v20, v19, v15, v21
	v_cndmask_b32_e32 v2, v22, v14, vcc_lo
	v_cndmask_b32_e64 v14, v17, v18, s7
	v_cndmask_b32_e32 v17, v20, v19, vcc_lo
	v_bfe_u32 v18, v2, 29, 1
	v_cndmask_b32_e64 v14, v16, v14, s8
	v_alignbit_b32 v16, v2, v17, 30
	v_sub_nc_u32_e32 v19, 0, v18
	v_alignbit_b32 v20, v15, v14, v21
	v_xor_b32_e32 v16, v16, v19
	v_cndmask_b32_e32 v15, v20, v15, vcc_lo
	v_ffbh_u32_e32 v20, v16
	v_alignbit_b32 v17, v17, v15, 30
	v_alignbit_b32 v14, v15, v14, 30
	v_min_u32_e32 v20, 32, v20
	v_xor_b32_e32 v15, v17, v19
	v_xor_b32_e32 v14, v14, v19
	v_lshrrev_b32_e32 v19, 29, v2
	v_lshrrev_b32_e32 v2, 30, v2
	v_sub_nc_u32_e32 v17, 31, v20
	v_lshlrev_b32_e32 v21, 23, v20
	v_alignbit_b32 v16, v16, v15, v17
	v_alignbit_b32 v14, v15, v14, v17
	v_lshlrev_b32_e32 v15, 31, v19
	v_alignbit_b32 v17, v16, v14, 9
	v_or_b32_e32 v19, 0.5, v15
	v_lshrrev_b32_e32 v16, 9, v16
	v_or_b32_e32 v15, 0x33000000, v15
	v_ffbh_u32_e32 v22, v17
	v_sub_nc_u32_e32 v19, v19, v21
	v_min_u32_e32 v21, 32, v22
	v_or_b32_e32 v16, v16, v19
	v_not_b32_e32 v19, v21
	v_mul_f32_e32 v22, 0x3fc90fda, v16
	v_add_lshl_u32 v20, v21, v20, 23
	v_alignbit_b32 v14, v17, v14, v19
	v_fma_f32 v17, 0x3fc90fda, v16, -v22
	v_sub_nc_u32_e32 v15, v15, v20
	v_lshrrev_b32_e32 v14, 9, v14
	v_fmac_f32_e32 v17, 0x33a22168, v16
	v_add_nc_u32_e32 v16, v18, v2
                                        ; implicit-def: $vgpr2
	v_or_b32_e32 v14, v15, v14
	v_fmac_f32_e32 v17, 0x3fc90fda, v14
	v_add_f32_e32 v14, v22, v17
	s_andn2_saveexec_b32 s7, s33
	s_cbranch_execnz .LBB6_17
	s_branch .LBB6_18
.LBB6_16:                               ;   in Loop: Header=BB6_2 Depth=1
	s_andn2_saveexec_b32 s7, s33
.LBB6_17:                               ;   in Loop: Header=BB6_2 Depth=1
	v_fma_f32 v14, 0xbfc90fda, v2, |v9|
	v_cvt_i32_f32_e32 v16, v2
	v_fmac_f32_e32 v14, 0xb3a22168, v2
	v_fmac_f32_e32 v14, 0xa7c234c4, v2
.LBB6_18:                               ;   in Loop: Header=BB6_2 Depth=1
	s_or_b32 exec_lo, exec_lo, s7
	v_add_co_u32 v17, vcc_lo, s20, v0
	v_add_co_ci_u32_e64 v18, null, s21, v1, vcc_lo
                                        ; implicit-def: $vgpr19
	global_load_dword v15, v[17:18], off
                                        ; implicit-def: $vgpr18
	s_waitcnt vmcnt(0)
	v_and_b32_e32 v17, 0x7fffffff, v15
	v_cmp_ngt_f32_e64 s33, 0x48000000, |v15|
	v_lshrrev_b32_e32 v2, 23, v17
	v_and_or_b32 v20, v17, s29, 0x800000
	v_add_nc_u32_e32 v21, 0xffffff88, v2
	s_and_saveexec_b32 s7, s33
	s_xor_b32 s34, exec_lo, s7
	s_cbranch_execz .LBB6_20
; %bb.19:                               ;   in Loop: Header=BB6_2 Depth=1
	v_mad_u64_u32 v[18:19], null, 0xfe5163ab, v20, 0
	v_cmp_lt_u32_e32 vcc_lo, 63, v21
	v_mov_b32_e32 v2, v19
	v_cndmask_b32_e64 v19, 0, 0xffffffc0, vcc_lo
	v_mad_u64_u32 v[22:23], null, 0x3c439041, v20, v[2:3]
	v_add_nc_u32_e32 v19, v19, v21
	v_cmp_lt_u32_e64 s7, 31, v19
	v_mov_b32_e32 v2, v23
	v_cndmask_b32_e64 v28, 0, 0xffffffe0, s7
	v_mad_u64_u32 v[23:24], null, 0xdb629599, v20, v[2:3]
	v_add_nc_u32_e32 v19, v28, v19
	v_mov_b32_e32 v2, v24
	v_cmp_lt_u32_e64 s8, 31, v19
	v_cndmask_b32_e32 v18, v23, v18, vcc_lo
	v_mad_u64_u32 v[24:25], null, 0xf534ddc0, v20, v[2:3]
	v_mov_b32_e32 v2, v25
	v_mad_u64_u32 v[25:26], null, 0xfc2757d1, v20, v[2:3]
	v_mov_b32_e32 v2, v26
	;; [unrolled: 2-line block ×3, first 2 shown]
	v_cndmask_b32_e32 v29, v26, v24, vcc_lo
	v_mad_u64_u32 v[27:28], null, 0xa2f9836e, v20, v[2:3]
	v_cndmask_b32_e64 v2, 0, 0xffffffe0, s8
	v_add_nc_u32_e32 v2, v2, v19
	v_cndmask_b32_e32 v27, v27, v25, vcc_lo
	v_cndmask_b32_e32 v26, v28, v26, vcc_lo
	v_cndmask_b32_e32 v25, v25, v23, vcc_lo
	v_cndmask_b32_e32 v19, v24, v22, vcc_lo
	v_cmp_eq_u32_e32 vcc_lo, 0, v2
	v_cndmask_b32_e64 v22, v27, v29, s7
	v_cndmask_b32_e64 v24, v26, v27, s7
	;; [unrolled: 1-line block ×3, first 2 shown]
	v_sub_nc_u32_e32 v27, 32, v2
	v_cndmask_b32_e64 v25, v25, v19, s7
	v_cndmask_b32_e64 v18, v19, v18, s7
	;; [unrolled: 1-line block ×6, first 2 shown]
	v_alignbit_b32 v28, v24, v22, v27
	v_alignbit_b32 v23, v22, v26, v27
	;; [unrolled: 1-line block ×3, first 2 shown]
	v_cndmask_b32_e32 v2, v28, v24, vcc_lo
	v_cndmask_b32_e32 v19, v23, v22, vcc_lo
	v_cndmask_b32_e32 v25, v25, v26, vcc_lo
	v_bfe_u32 v22, v2, 29, 1
	v_alignbit_b32 v23, v2, v19, 30
	v_alignbit_b32 v19, v19, v25, 30
	;; [unrolled: 1-line block ×3, first 2 shown]
	v_sub_nc_u32_e32 v24, 0, v22
	v_xor_b32_e32 v23, v23, v24
	v_xor_b32_e32 v19, v19, v24
	;; [unrolled: 1-line block ×3, first 2 shown]
	v_lshrrev_b32_e32 v24, 29, v2
	v_lshrrev_b32_e32 v2, 30, v2
	v_ffbh_u32_e32 v26, v23
	v_min_u32_e32 v26, 32, v26
	v_sub_nc_u32_e32 v25, 31, v26
	v_lshlrev_b32_e32 v27, 23, v26
	v_alignbit_b32 v23, v23, v19, v25
	v_alignbit_b32 v18, v19, v18, v25
	v_lshlrev_b32_e32 v19, 31, v24
	v_alignbit_b32 v24, v23, v18, 9
	v_or_b32_e32 v25, 0.5, v19
	v_lshrrev_b32_e32 v23, 9, v23
	v_or_b32_e32 v19, 0x33000000, v19
	v_ffbh_u32_e32 v28, v24
	v_sub_nc_u32_e32 v25, v25, v27
	v_min_u32_e32 v27, 32, v28
	v_or_b32_e32 v23, v23, v25
	v_not_b32_e32 v25, v27
	v_mul_f32_e32 v28, 0x3fc90fda, v23
	v_add_lshl_u32 v26, v27, v26, 23
	v_alignbit_b32 v18, v24, v18, v25
	v_fma_f32 v24, 0x3fc90fda, v23, -v28
	v_sub_nc_u32_e32 v19, v19, v26
	v_lshrrev_b32_e32 v18, 9, v18
	v_fmac_f32_e32 v24, 0x33a22168, v23
	v_or_b32_e32 v18, v19, v18
	v_add_nc_u32_e32 v19, v22, v2
	v_fmac_f32_e32 v24, 0x3fc90fda, v18
	v_add_f32_e32 v18, v28, v24
.LBB6_20:                               ;   in Loop: Header=BB6_2 Depth=1
	s_or_saveexec_b32 s7, s34
	v_mul_f32_e64 v2, 0x3f22f983, |v15|
	v_rndne_f32_e32 v23, v2
	s_xor_b32 exec_lo, exec_lo, s7
; %bb.21:                               ;   in Loop: Header=BB6_2 Depth=1
	v_fma_f32 v18, 0xbfc90fda, v23, |v15|
	v_cvt_i32_f32_e32 v19, v23
	v_fmac_f32_e32 v18, 0xb3a22168, v23
	v_fmac_f32_e32 v18, 0xa7c234c4, v23
; %bb.22:                               ;   in Loop: Header=BB6_2 Depth=1
	s_or_b32 exec_lo, exec_lo, s7
                                        ; implicit-def: $vgpr22
                                        ; implicit-def: $vgpr2
	s_and_saveexec_b32 s7, s33
	s_xor_b32 s33, exec_lo, s7
	s_cbranch_execz .LBB6_24
; %bb.23:                               ;   in Loop: Header=BB6_2 Depth=1
	v_mad_u64_u32 v[22:23], null, 0xfe5163ab, v20, 0
	v_cmp_lt_u32_e32 vcc_lo, 63, v21
	v_cndmask_b32_e64 v28, 0, 0xffffffc0, vcc_lo
	v_mov_b32_e32 v2, v23
	v_add_nc_u32_e32 v21, v28, v21
	v_mad_u64_u32 v[23:24], null, 0x3c439041, v20, v[2:3]
	v_cmp_lt_u32_e64 s7, 31, v21
	v_mov_b32_e32 v2, v24
	v_cndmask_b32_e64 v29, 0, 0xffffffe0, s7
	v_mad_u64_u32 v[24:25], null, 0xdb629599, v20, v[2:3]
	v_mov_b32_e32 v2, v25
	v_cndmask_b32_e32 v22, v24, v22, vcc_lo
	v_mad_u64_u32 v[25:26], null, 0xf534ddc0, v20, v[2:3]
	v_mov_b32_e32 v2, v26
	v_cndmask_b32_e32 v23, v25, v23, vcc_lo
	v_mad_u64_u32 v[26:27], null, 0xfc2757d1, v20, v[2:3]
	v_mov_b32_e32 v2, v27
	v_mad_u64_u32 v[27:28], null, 0x4e441529, v20, v[2:3]
	v_mov_b32_e32 v2, v28
	v_add_nc_u32_e32 v28, v29, v21
	v_cndmask_b32_e32 v29, v27, v25, vcc_lo
	v_mad_u64_u32 v[20:21], null, 0xa2f9836e, v20, v[2:3]
	v_cmp_lt_u32_e64 s8, 31, v28
	v_cndmask_b32_e64 v2, 0, 0xffffffe0, s8
	v_cndmask_b32_e32 v20, v20, v26, vcc_lo
	v_cndmask_b32_e32 v21, v21, v27, vcc_lo
	;; [unrolled: 1-line block ×3, first 2 shown]
	v_add_nc_u32_e32 v2, v2, v28
	v_cndmask_b32_e64 v25, v20, v29, s7
	v_cndmask_b32_e64 v20, v21, v20, s7
	;; [unrolled: 1-line block ×4, first 2 shown]
	v_sub_nc_u32_e32 v27, 32, v2
	v_cmp_eq_u32_e32 vcc_lo, 0, v2
	v_cndmask_b32_e64 v20, v20, v25, s8
	v_cndmask_b32_e64 v25, v25, v21, s8
	;; [unrolled: 1-line block ×3, first 2 shown]
	v_alignbit_b32 v28, v20, v25, v27
	v_alignbit_b32 v24, v25, v21, v27
	v_cndmask_b32_e32 v2, v28, v20, vcc_lo
	v_cndmask_b32_e64 v20, v23, v22, s7
	v_cndmask_b32_e32 v22, v24, v25, vcc_lo
	v_bfe_u32 v23, v2, 29, 1
	v_cndmask_b32_e64 v20, v26, v20, s8
	v_alignbit_b32 v24, v2, v22, 30
	v_sub_nc_u32_e32 v25, 0, v23
	v_alignbit_b32 v26, v21, v20, v27
	v_xor_b32_e32 v24, v24, v25
	v_cndmask_b32_e32 v21, v26, v21, vcc_lo
	v_ffbh_u32_e32 v26, v24
	v_alignbit_b32 v22, v22, v21, 30
	v_alignbit_b32 v20, v21, v20, 30
	v_min_u32_e32 v26, 32, v26
	v_xor_b32_e32 v21, v22, v25
	v_xor_b32_e32 v20, v20, v25
	v_lshrrev_b32_e32 v25, 29, v2
	v_sub_nc_u32_e32 v22, 31, v26
	v_lshlrev_b32_e32 v27, 23, v26
	v_alignbit_b32 v24, v24, v21, v22
	v_alignbit_b32 v20, v21, v20, v22
	v_lshlrev_b32_e32 v21, 31, v25
	v_alignbit_b32 v22, v24, v20, 9
	v_or_b32_e32 v25, 0.5, v21
	v_lshrrev_b32_e32 v24, 9, v24
	v_or_b32_e32 v21, 0x33000000, v21
	v_ffbh_u32_e32 v28, v22
	v_sub_nc_u32_e32 v25, v25, v27
	v_min_u32_e32 v27, 32, v28
	v_or_b32_e32 v24, v24, v25
	v_not_b32_e32 v25, v27
	v_mul_f32_e32 v28, 0x3fc90fda, v24
	v_add_lshl_u32 v26, v27, v26, 23
	v_alignbit_b32 v20, v22, v20, v25
	v_fma_f32 v22, 0x3fc90fda, v24, -v28
	v_sub_nc_u32_e32 v21, v21, v26
	v_lshrrev_b32_e32 v20, 9, v20
	v_fmac_f32_e32 v22, 0x33a22168, v24
	v_or_b32_e32 v20, v21, v20
	v_fmac_f32_e32 v22, 0x3fc90fda, v20
	v_lshrrev_b32_e32 v20, 30, v2
	v_add_f32_e32 v2, v28, v22
	v_add_nc_u32_e32 v22, v23, v20
                                        ; implicit-def: $vgpr23
	s_andn2_saveexec_b32 s7, s33
	s_cbranch_execz .LBB6_1
	s_branch .LBB6_25
.LBB6_24:                               ;   in Loop: Header=BB6_2 Depth=1
	s_andn2_saveexec_b32 s7, s33
	s_cbranch_execz .LBB6_1
.LBB6_25:                               ;   in Loop: Header=BB6_2 Depth=1
	v_fma_f32 v2, 0xbfc90fda, v23, |v15|
	v_cvt_i32_f32_e32 v22, v23
	v_fmac_f32_e32 v2, 0xb3a22168, v23
	v_fmac_f32_e32 v2, 0xa7c234c4, v23
	s_branch .LBB6_1
.LBB6_26:
	s_clause 0x1
	s_load_dwordx2 s[8:9], s[4:5], 0x0
	s_load_dwordx4 s[16:19], s[4:5], 0x48
	buffer_load_dword v0, off, s[0:3], 0 offset:272
	s_mov_b32 s4, 0x20000
	v_mov_b32_e32 v37, 0
	s_mov_b32 s21, 0
	s_mov_b32 s20, s21
	s_waitcnt lgkmcnt(0)
	s_max_i32 s24, s9, 1
	s_max_i32 s25, s8, 1
	s_add_u32 s12, s12, 8
	s_addc_u32 s13, s13, 0
	s_waitcnt vmcnt(0)
	buffer_store_dword v0, off, s[0:3], 0 offset:3940 ; 4-byte Folded Spill
	buffer_load_dword v0, off, s[0:3], 0 offset:276
	s_waitcnt vmcnt(0)
	buffer_store_dword v0, off, s[0:3], 0 offset:3944 ; 4-byte Folded Spill
	buffer_load_dword v0, off, s[0:3], 0 offset:280
	s_waitcnt vmcnt(0)
	buffer_store_dword v0, off, s[0:3], 0 offset:3948 ; 4-byte Folded Spill
	buffer_load_dword v0, off, s[0:3], 0 offset:284
	s_waitcnt vmcnt(0)
	buffer_store_dword v0, off, s[0:3], 0 offset:3952 ; 4-byte Folded Spill
	buffer_load_dword v0, off, s[0:3], 0 offset:288
	s_waitcnt vmcnt(0)
	buffer_store_dword v0, off, s[0:3], 0 offset:3956 ; 4-byte Folded Spill
	buffer_load_dword v0, off, s[0:3], 0 offset:292
	s_waitcnt vmcnt(0)
	buffer_store_dword v0, off, s[0:3], 0 offset:3960 ; 4-byte Folded Spill
	buffer_load_dword v0, off, s[0:3], 0 offset:296
	s_waitcnt vmcnt(0)
	buffer_store_dword v0, off, s[0:3], 0 offset:3964 ; 4-byte Folded Spill
	buffer_load_dword v0, off, s[0:3], 0 offset:300
	s_waitcnt vmcnt(0)
	buffer_store_dword v0, off, s[0:3], 0 offset:3968 ; 4-byte Folded Spill
	buffer_load_dword v0, off, s[0:3], 0 offset:304
	s_waitcnt vmcnt(0)
	buffer_store_dword v0, off, s[0:3], 0 offset:3972 ; 4-byte Folded Spill
	buffer_load_dword v0, off, s[0:3], 0 offset:308
	s_waitcnt vmcnt(0)
	buffer_store_dword v0, off, s[0:3], 0 offset:3976 ; 4-byte Folded Spill
	buffer_load_dword v0, off, s[0:3], 0 offset:312
	s_waitcnt vmcnt(0)
	buffer_store_dword v0, off, s[0:3], 0 offset:3980 ; 4-byte Folded Spill
	buffer_load_dword v0, off, s[0:3], 0 offset:316
	s_waitcnt vmcnt(0)
	buffer_store_dword v0, off, s[0:3], 0 offset:3984 ; 4-byte Folded Spill
	buffer_load_dword v0, off, s[0:3], 0 offset:320
	s_waitcnt vmcnt(0)
	buffer_store_dword v0, off, s[0:3], 0 offset:3988 ; 4-byte Folded Spill
	buffer_load_dword v0, off, s[0:3], 0 offset:324
	s_waitcnt vmcnt(0)
	buffer_store_dword v0, off, s[0:3], 0 offset:3992 ; 4-byte Folded Spill
	buffer_load_dword v0, off, s[0:3], 0 offset:328
	s_waitcnt vmcnt(0)
	buffer_store_dword v0, off, s[0:3], 0 offset:3996 ; 4-byte Folded Spill
	buffer_load_dword v0, off, s[0:3], 0 offset:332
	s_waitcnt vmcnt(0)
	buffer_store_dword v0, off, s[0:3], 0 offset:4000 ; 4-byte Folded Spill
	buffer_load_dword v0, off, s[0:3], 0 offset:348
	s_waitcnt vmcnt(0)
	buffer_store_dword v0, off, s[0:3], 0 offset:4004 ; 4-byte Folded Spill
	buffer_load_dword v0, off, s[0:3], 0 offset:336
	s_waitcnt vmcnt(0)
	buffer_store_dword v0, off, s[0:3], 0 offset:4008 ; 4-byte Folded Spill
	buffer_load_dword v0, off, s[0:3], 0 offset:340
	s_waitcnt vmcnt(0)
	buffer_store_dword v0, off, s[0:3], 0 offset:4012 ; 4-byte Folded Spill
	buffer_load_dword v0, off, s[0:3], 0 offset:364
	s_waitcnt vmcnt(0)
	buffer_store_dword v0, off, s[0:3], 0 offset:4016 ; 4-byte Folded Spill
	buffer_load_dword v0, off, s[0:3], 0 offset:352
	s_waitcnt vmcnt(0)
	buffer_store_dword v0, off, s[0:3], 0 offset:4020 ; 4-byte Folded Spill
	buffer_load_dword v0, off, s[0:3], 0 offset:356
	s_waitcnt vmcnt(0)
	buffer_store_dword v0, off, s[0:3], 0 offset:4024 ; 4-byte Folded Spill
	buffer_load_dword v0, off, s[0:3], 0 offset:360
	s_waitcnt vmcnt(0)
	buffer_store_dword v0, off, s[0:3], 0 offset:4028 ; 4-byte Folded Spill
	buffer_load_dword v0, off, s[0:3], 0 offset:344
	s_waitcnt vmcnt(0)
	buffer_store_dword v0, off, s[0:3], 0 offset:4032 ; 4-byte Folded Spill
	buffer_load_dword v0, off, s[0:3], 0 offset:380
	s_waitcnt vmcnt(0)
	buffer_store_dword v0, off, s[0:3], 0 offset:4036 ; 4-byte Folded Spill
	buffer_load_dword v0, off, s[0:3], 0 offset:368
	s_waitcnt vmcnt(0)
	buffer_store_dword v0, off, s[0:3], 0 offset:4040 ; 4-byte Folded Spill
	buffer_load_dword v0, off, s[0:3], 0 offset:372
	s_waitcnt vmcnt(0)
	buffer_store_dword v0, off, s[0:3], 0 offset:4044 ; 4-byte Folded Spill
	buffer_load_dword v0, off, s[0:3], 0 offset:396
	s_waitcnt vmcnt(0)
	buffer_store_dword v0, off, s[0:3], 0 offset:4048 ; 4-byte Folded Spill
	buffer_load_dword v0, off, s[0:3], 0 offset:384
	s_waitcnt vmcnt(0)
	buffer_store_dword v0, off, s[0:3], 0 offset:4052 ; 4-byte Folded Spill
	buffer_load_dword v0, off, s[0:3], 0 offset:388
	s_waitcnt vmcnt(0)
	buffer_store_dword v0, off, s[0:3], 0 offset:4056 ; 4-byte Folded Spill
	buffer_load_dword v0, off, s[0:3], 0 offset:392
	s_waitcnt vmcnt(0)
	buffer_store_dword v0, off, s[0:3], 0 offset:4060 ; 4-byte Folded Spill
	buffer_load_dword v0, off, s[0:3], 0 offset:376
	s_waitcnt vmcnt(0)
	buffer_store_dword v0, off, s[0:3], 0 offset:4064 ; 4-byte Folded Spill
	buffer_load_dword v0, off, s[0:3], 0 offset:412
	s_waitcnt vmcnt(0)
	buffer_store_dword v0, off, s[0:3], 0 offset:4068 ; 4-byte Folded Spill
	buffer_load_dword v0, off, s[0:3], 0 offset:400
	s_waitcnt vmcnt(0)
	buffer_store_dword v0, off, s[0:3], 0 offset:4072 ; 4-byte Folded Spill
	buffer_load_dword v0, off, s[0:3], 0 offset:404
	s_waitcnt vmcnt(0)
	buffer_store_dword v0, off, s[0:3], 0 offset:4076 ; 4-byte Folded Spill
	buffer_load_dword v0, off, s[0:3], 0 offset:428
	s_waitcnt vmcnt(0)
	buffer_store_dword v0, off, s[0:3], 0 offset:4080 ; 4-byte Folded Spill
	buffer_load_dword v0, off, s[0:3], 0 offset:416
	s_waitcnt vmcnt(0)
	buffer_store_dword v0, off, s[0:3], 0 offset:4084 ; 4-byte Folded Spill
	buffer_load_dword v0, off, s[0:3], 0 offset:420
	s_waitcnt vmcnt(0)
	buffer_store_dword v0, off, s[0:3], 0 offset:4088 ; 4-byte Folded Spill
	buffer_load_dword v0, off, s[0:3], 0 offset:424
	s_waitcnt vmcnt(0)
	buffer_store_dword v0, off, s[0:3], 0 offset:4092 ; 4-byte Folded Spill
	buffer_load_dword v0, off, s[0:3], 0 offset:408
	s_waitcnt vmcnt(0)
	buffer_store_dword v0, off, s[0:3], s4  ; 4-byte Folded Spill
	buffer_load_dword v0, off, s[0:3], 0 offset:444
	s_mov_b32 s4, 0x20080
	s_waitcnt vmcnt(0)
	buffer_store_dword v0, off, s[0:3], s4  ; 4-byte Folded Spill
	buffer_load_dword v0, off, s[0:3], 0 offset:432
	s_mov_b32 s4, 0x20100
	;; [unrolled: 4-line block ×260, first 2 shown]
	s_waitcnt vmcnt(0)
	buffer_store_dword v0, off, s[0:3], s4  ; 4-byte Folded Spill
.LBB6_27:                               ; =>This Loop Header: Depth=1
                                        ;     Child Loop BB6_28 Depth 2
	s_clause 0x1
	buffer_load_dword v6, off, s[0:3], 0 offset:1472
	buffer_load_dword v0, off, s[0:3], 0 offset:1476
	s_lshl_b64 s[4:5], s[20:21], 4
	s_mov_b32 s26, s24
	s_add_u32 s4, s14, s4
	s_addc_u32 s5, s15, s5
	s_mov_b64 s[22:23], s[12:13]
	s_waitcnt vmcnt(0)
	buffer_store_dword v0, off, s[0:3], 0 offset:3360 ; 4-byte Folded Spill
	buffer_load_dword v0, off, s[0:3], 0 offset:1480
	s_waitcnt vmcnt(0)
	buffer_store_dword v0, off, s[0:3], 0 offset:3344 ; 4-byte Folded Spill
	s_clause 0x3
	buffer_load_dword v102, off, s[0:3], 0 offset:1484
	buffer_load_dword v7, off, s[0:3], 0 offset:1488
	;; [unrolled: 1-line block ×4, first 2 shown]
	s_waitcnt vmcnt(1)
	buffer_store_dword v0, off, s[0:3], 0 offset:3364 ; 4-byte Folded Spill
	buffer_load_dword v0, off, s[0:3], 0 offset:1496
	s_waitcnt vmcnt(0)
	buffer_store_dword v0, off, s[0:3], 0 offset:3348 ; 4-byte Folded Spill
	global_load_dwordx4 v[0:3], v37, s[4:5]
	s_clause 0x3
	buffer_load_dword v12, off, s[0:3], 0 offset:1504
	buffer_load_dword v104, off, s[0:3], 0 offset:1516
	;; [unrolled: 1-line block ×4, first 2 shown]
	s_mov_b32 s4, 0x20000
	buffer_load_dword v105, off, s[0:3], 0 offset:1532
	s_waitcnt vmcnt(3)
	v_fmac_f32_e32 v104, v0, v12
	s_waitcnt vmcnt(1)
	buffer_store_dword v4, off, s[0:3], 0 offset:3368 ; 4-byte Folded Spill
	buffer_load_dword v4, off, s[0:3], 0 offset:1524
	v_fmac_f32_e32 v103, v0, v7
	v_fmac_f32_e32 v102, v0, v6
	s_waitcnt vmcnt(1)
	v_fmac_f32_e32 v105, v0, v13
	s_waitcnt vmcnt(0)
	buffer_store_dword v4, off, s[0:3], 0 offset:3372 ; 4-byte Folded Spill
	buffer_load_dword v4, off, s[0:3], 0 offset:1528
	s_waitcnt vmcnt(0)
	buffer_store_dword v4, off, s[0:3], 0 offset:3356 ; 4-byte Folded Spill
	buffer_load_dword v4, off, s[0:3], 0 offset:1512
	s_waitcnt vmcnt(0)
	buffer_store_dword v4, off, s[0:3], 0 offset:3352 ; 4-byte Folded Spill
	s_clause 0x4
	buffer_load_dword v106, off, s[0:3], 0 offset:1548
	buffer_load_dword v14, off, s[0:3], 0 offset:1536
	buffer_load_dword v15, off, s[0:3], 0 offset:1552
	buffer_load_dword v108, off, s[0:3], 0 offset:1564
	buffer_load_dword v4, off, s[0:3], 0 offset:1556
	s_waitcnt vmcnt(3)
	v_fmac_f32_e32 v106, v0, v14
	s_waitcnt vmcnt(1)
	v_fmac_f32_e32 v108, v0, v15
	s_waitcnt vmcnt(0)
	buffer_store_dword v4, off, s[0:3], 0 offset:3392 ; 4-byte Folded Spill
	buffer_load_dword v4, off, s[0:3], 0 offset:1560
	s_waitcnt vmcnt(0)
	buffer_store_dword v4, off, s[0:3], 0 offset:3376 ; 4-byte Folded Spill
	buffer_load_dword v4, off, s[0:3], 0 offset:1540
	s_waitcnt vmcnt(0)
	buffer_store_dword v4, off, s[0:3], 0 offset:3396 ; 4-byte Folded Spill
	buffer_load_dword v4, off, s[0:3], 0 offset:1544
	s_waitcnt vmcnt(0)
	buffer_store_dword v4, off, s[0:3], 0 offset:3380 ; 4-byte Folded Spill
	s_clause 0x4
	buffer_load_dword v109, off, s[0:3], 0 offset:1580
	buffer_load_dword v18, off, s[0:3], 0 offset:1568
	buffer_load_dword v19, off, s[0:3], 0 offset:1584
	buffer_load_dword v110, off, s[0:3], 0 offset:1596
	buffer_load_dword v4, off, s[0:3], 0 offset:1588
	s_waitcnt vmcnt(3)
	v_fmac_f32_e32 v109, v0, v18
	s_waitcnt vmcnt(1)
	v_fmac_f32_e32 v110, v0, v19
	s_waitcnt vmcnt(0)
	buffer_store_dword v4, off, s[0:3], 0 offset:3408 ; 4-byte Folded Spill
	buffer_load_dword v4, off, s[0:3], 0 offset:1592
	;; [unrolled: 21-line block ×4, first 2 shown]
	s_waitcnt vmcnt(0)
	buffer_store_dword v4, off, s[0:3], 0 offset:3416 ; 4-byte Folded Spill
	s_clause 0x1
	buffer_load_dword v23, off, s[0:3], 0 offset:1636
	buffer_load_dword v4, off, s[0:3], 0 offset:1640
	s_waitcnt vmcnt(1)
	v_fmac_f32_e32 v113, v1, v23
	s_waitcnt vmcnt(0)
	buffer_store_dword v4, off, s[0:3], 0 offset:3420 ; 4-byte Folded Spill
	s_clause 0x7
	buffer_load_dword v115, off, s[0:3], 0 offset:1676
	buffer_load_dword v30, off, s[0:3], 0 offset:1664
	;; [unrolled: 1-line block ×8, first 2 shown]
	s_waitcnt vmcnt(6)
	v_fmac_f32_e32 v115, v0, v30
	s_waitcnt vmcnt(4)
	v_fmac_f32_e32 v116, v0, v31
	s_clause 0x7
	buffer_load_dword v117, off, s[0:3], 0 offset:1708
	buffer_load_dword v34, off, s[0:3], 0 offset:1696
	buffer_load_dword v35, off, s[0:3], 0 offset:1712
	buffer_load_dword v118, off, s[0:3], 0 offset:1724
	buffer_load_dword v20, off, s[0:3], 0 offset:1716
	buffer_load_dword v30, off, s[0:3], 0 offset:1720
	buffer_load_dword v19, off, s[0:3], 0 offset:1700
	buffer_load_dword v31, off, s[0:3], 0 offset:1704
	s_waitcnt vmcnt(9)
	v_fmac_f32_e32 v115, v1, v21
	v_fmac_f32_e32 v116, v1, v22
	s_waitcnt vmcnt(8)
	v_fmac_f32_e32 v115, v2, v27
	v_fmac_f32_e32 v116, v2, v26
	s_waitcnt vmcnt(6)
	v_fmac_f32_e32 v117, v0, v34
	s_waitcnt vmcnt(4)
	v_fmac_f32_e32 v118, v0, v35
	s_clause 0x7
	buffer_load_dword v119, off, s[0:3], 0 offset:1740
	buffer_load_dword v38, off, s[0:3], 0 offset:1728
	buffer_load_dword v39, off, s[0:3], 0 offset:1744
	buffer_load_dword v120, off, s[0:3], 0 offset:1756
	buffer_load_dword v40, off, s[0:3], 0 offset:1748
	buffer_load_dword v34, off, s[0:3], 0 offset:1752
	buffer_load_dword v41, off, s[0:3], 0 offset:1732
	buffer_load_dword v35, off, s[0:3], 0 offset:1736
	s_waitcnt vmcnt(9)
	v_fmac_f32_e32 v117, v1, v19
	v_fmac_f32_e32 v118, v1, v20
	s_waitcnt vmcnt(8)
	v_fmac_f32_e32 v117, v2, v31
	v_fmac_f32_e32 v118, v2, v30
	;; [unrolled: 19-line block ×16, first 2 shown]
	s_waitcnt vmcnt(6)
	v_fmac_f32_e32 v32, v0, v62
	s_waitcnt vmcnt(4)
	v_fmac_f32_e32 v33, v0, v63
	s_clause 0x7
	buffer_load_dword v36, off, s[0:3], 0 offset:2220
	buffer_load_dword v100, off, s[0:3], 0 offset:2208
	buffer_load_dword v99, off, s[0:3], 0 offset:2212
	buffer_load_dword v94, off, s[0:3], 0 offset:2224
	buffer_load_dword v63, off, s[0:3], 0 offset:2228
	buffer_load_dword v62, off, s[0:3], 0 offset:2232
	buffer_load_dword v14, off, s[0:3], 0 offset:2236
	buffer_load_dword v101, off, s[0:3], 0 offset:2216
	buffer_store_dword v126, off, s[0:3], 0 offset:3436 ; 4-byte Folded Spill
	s_waitcnt vmcnt(9)
	v_fmac_f32_e32 v32, v1, v98
	buffer_store_dword v127, off, s[0:3], 0 offset:3440 ; 4-byte Folded Spill
	v_fmac_f32_e32 v33, v1, v97
	buffer_store_dword v18, off, s[0:3], 0 offset:3444 ; 4-byte Folded Spill
	buffer_store_dword v17, off, s[0:3], 0 offset:3448 ; 4-byte Folded Spill
	s_waitcnt vmcnt(8)
	v_fmac_f32_e32 v32, v2, v93
	buffer_store_dword v16, off, s[0:3], 0 offset:3452 ; 4-byte Folded Spill
	v_fmac_f32_e32 v33, v2, v92
	buffer_store_dword v15, off, s[0:3], 0 offset:3456 ; 4-byte Folded Spill
	buffer_store_dword v13, off, s[0:3], 0 offset:3460 ; 4-byte Folded Spill
	;; [unrolled: 1-line block ×18, first 2 shown]
	s_clause 0x1
	buffer_load_dword v23, off, s[0:3], 0 offset:3432
	buffer_load_dword v19, off, s[0:3], 0 offset:3344
	buffer_store_dword v125, off, s[0:3], 0 offset:3432 ; 4-byte Folded Spill
	s_waitcnt vmcnt(8)
	v_fmac_f32_e32 v36, v0, v100
	buffer_load_dword v100, off, s[0:3], 0 offset:3360 ; 4-byte Folded Reload
	s_waitcnt vmcnt(8)
	v_fmac_f32_e32 v36, v1, v99
	s_waitcnt vmcnt(4)
	v_fmac_f32_e32 v14, v0, v94
	;; [unrolled: 2-line block ×3, first 2 shown]
	v_fmac_f32_e32 v14, v1, v63
	buffer_store_dword v36, off, s[0:3], 0 offset:3528 ; 4-byte Folded Spill
	v_fmac_f32_e32 v14, v2, v62
	s_waitcnt vmcnt(2)
	v_fmac_f32_e32 v114, v1, v23
	s_waitcnt vmcnt(0)
	v_fmac_f32_e32 v102, v1, v100
	buffer_load_dword v100, off, s[0:3], 0 offset:3364 ; 4-byte Folded Reload
	v_fmac_f32_e32 v102, v2, v19
	buffer_load_dword v19, off, s[0:3], 0 offset:3348 ; 4-byte Folded Reload
	buffer_store_dword v102, off, s[0:3], 0 offset:3344 ; 4-byte Folded Spill
	s_waitcnt vmcnt(1)
	v_fmac_f32_e32 v103, v1, v100
	buffer_load_dword v100, off, s[0:3], 0 offset:3368 ; 4-byte Folded Reload
	s_waitcnt vmcnt(1)
	v_fmac_f32_e32 v103, v2, v19
	buffer_load_dword v19, off, s[0:3], 0 offset:3352 ; 4-byte Folded Reload
	buffer_store_dword v103, off, s[0:3], 0 offset:3348 ; 4-byte Folded Spill
	s_waitcnt vmcnt(1)
	v_fmac_f32_e32 v104, v1, v100
	buffer_load_dword v100, off, s[0:3], 0 offset:3372 ; 4-byte Folded Reload
	s_waitcnt vmcnt(1)
	v_fmac_f32_e32 v104, v2, v19
	buffer_load_dword v19, off, s[0:3], 0 offset:3356 ; 4-byte Folded Reload
	buffer_store_dword v104, off, s[0:3], 0 offset:3352 ; 4-byte Folded Spill
	s_waitcnt vmcnt(1)
	v_fmac_f32_e32 v105, v1, v100
	buffer_load_dword v100, off, s[0:3], 0 offset:3396 ; 4-byte Folded Reload
	s_waitcnt vmcnt(1)
	v_fmac_f32_e32 v105, v2, v19
	buffer_load_dword v19, off, s[0:3], 0 offset:3380 ; 4-byte Folded Reload
	buffer_store_dword v116, off, s[0:3], 0 offset:3396 ; 4-byte Folded Spill
	buffer_store_dword v105, off, s[0:3], 0 offset:3356 ; 4-byte Folded Spill
	s_waitcnt vmcnt(1)
	v_fmac_f32_e32 v106, v1, v100
	buffer_load_dword v100, off, s[0:3], 0 offset:3392 ; 4-byte Folded Reload
	s_waitcnt vmcnt(1)
	v_fmac_f32_e32 v106, v2, v19
	buffer_load_dword v19, off, s[0:3], 0 offset:3376 ; 4-byte Folded Reload
	buffer_store_dword v115, off, s[0:3], 0 offset:3392 ; 4-byte Folded Spill
	buffer_store_dword v106, off, s[0:3], 0 offset:3360 ; 4-byte Folded Spill
	s_waitcnt vmcnt(1)
	v_fmac_f32_e32 v108, v1, v100
	buffer_load_dword v100, off, s[0:3], 0 offset:3412 ; 4-byte Folded Reload
	s_waitcnt vmcnt(1)
	;; [unrolled: 8-line block ×4, first 2 shown]
	v_fmac_f32_e32 v110, v2, v19
	buffer_load_dword v19, off, s[0:3], 0 offset:3404 ; 4-byte Folded Reload
	buffer_store_dword v118, off, s[0:3], 0 offset:3404 ; 4-byte Folded Spill
	buffer_store_dword v124, off, s[0:3], 0 offset:3428 ; 4-byte Folded Spill
	;; [unrolled: 1-line block ×3, first 2 shown]
	s_waitcnt vmcnt(1)
	v_fmac_f32_e32 v111, v1, v100
	buffer_load_dword v100, off, s[0:3], 0 offset:3424 ; 4-byte Folded Reload
	s_waitcnt vmcnt(1)
	v_fmac_f32_e32 v111, v2, v19
	buffer_load_dword v19, off, s[0:3], 0 offset:3400 ; 4-byte Folded Reload
	buffer_store_dword v117, off, s[0:3], 0 offset:3400 ; 4-byte Folded Spill
	buffer_store_dword v123, off, s[0:3], 0 offset:3424 ; 4-byte Folded Spill
	;; [unrolled: 1-line block ×3, first 2 shown]
	s_waitcnt vmcnt(1)
	v_fmac_f32_e32 v112, v1, v100
	s_waitcnt vmcnt(0)
	v_fmac_f32_e32 v112, v2, v19
	buffer_load_dword v19, off, s[0:3], 0 offset:3420 ; 4-byte Folded Reload
	buffer_store_dword v122, off, s[0:3], 0 offset:3420 ; 4-byte Folded Spill
	buffer_store_dword v112, off, s[0:3], 0 offset:3380 ; 4-byte Folded Spill
	s_waitcnt vmcnt(0)
	v_fmac_f32_e32 v113, v2, v19
	buffer_load_dword v19, off, s[0:3], 0 offset:3416 ; 4-byte Folded Reload
	buffer_store_dword v121, off, s[0:3], 0 offset:3416 ; 4-byte Folded Spill
	buffer_store_dword v113, off, s[0:3], 0 offset:3384 ; 4-byte Folded Spill
	s_waitcnt vmcnt(0)
	v_fmac_f32_e32 v114, v2, v19
	buffer_store_dword v114, off, s[0:3], 0 offset:3388 ; 4-byte Folded Spill
	s_clause 0x7
	buffer_load_dword v15, off, s[0:3], 0 offset:2252
	buffer_load_dword v4, off, s[0:3], 0 offset:2240
	;; [unrolled: 1-line block ×8, first 2 shown]
	s_waitcnt vmcnt(6)
	v_fmac_f32_e32 v15, v0, v4
	s_waitcnt vmcnt(4)
	v_fmac_f32_e32 v16, v0, v5
	s_clause 0x7
	buffer_load_dword v17, off, s[0:3], 0 offset:2284
	buffer_load_dword v4, off, s[0:3], 0 offset:2272
	;; [unrolled: 1-line block ×8, first 2 shown]
	buffer_store_dword v14, off, s[0:3], 0 offset:3532 ; 4-byte Folded Spill
	s_waitcnt vmcnt(9)
	v_fmac_f32_e32 v15, v1, v8
	v_fmac_f32_e32 v16, v1, v6
	s_waitcnt vmcnt(8)
	v_fmac_f32_e32 v15, v2, v9
	v_fmac_f32_e32 v16, v2, v7
	buffer_store_dword v15, off, s[0:3], 0 offset:3536 ; 4-byte Folded Spill
	buffer_store_dword v16, off, s[0:3], 0 offset:3540 ; 4-byte Folded Spill
	s_waitcnt vmcnt(6)
	v_fmac_f32_e32 v17, v0, v4
	s_waitcnt vmcnt(4)
	v_fmac_f32_e32 v18, v0, v5
	;; [unrolled: 2-line block ×5, first 2 shown]
	v_fmac_f32_e32 v18, v2, v12
	buffer_store_dword v17, off, s[0:3], 0 offset:3544 ; 4-byte Folded Spill
	buffer_store_dword v18, off, s[0:3], 0 offset:3548 ; 4-byte Folded Spill
	s_clause 0x7
	buffer_load_dword v18, off, s[0:3], 0 offset:2316
	buffer_load_dword v4, off, s[0:3], 0 offset:2304
	;; [unrolled: 1-line block ×8, first 2 shown]
	s_waitcnt vmcnt(6)
	v_fmac_f32_e32 v18, v0, v4
	s_waitcnt vmcnt(4)
	v_fmac_f32_e32 v19, v0, v5
	s_clause 0x7
	buffer_load_dword v20, off, s[0:3], 0 offset:2348
	buffer_load_dword v4, off, s[0:3], 0 offset:2336
	;; [unrolled: 1-line block ×8, first 2 shown]
	s_waitcnt vmcnt(9)
	v_fmac_f32_e32 v18, v1, v8
	v_fmac_f32_e32 v19, v1, v6
	s_waitcnt vmcnt(8)
	v_fmac_f32_e32 v18, v2, v9
	v_fmac_f32_e32 v19, v2, v7
	s_waitcnt vmcnt(6)
	v_fmac_f32_e32 v20, v0, v4
	s_waitcnt vmcnt(4)
	v_fmac_f32_e32 v21, v0, v5
	s_clause 0x7
	buffer_load_dword v22, off, s[0:3], 0 offset:2380
	buffer_load_dword v4, off, s[0:3], 0 offset:2368
	;; [unrolled: 1-line block ×8, first 2 shown]
	buffer_store_dword v18, off, s[0:3], 0 offset:3552 ; 4-byte Folded Spill
	s_waitcnt vmcnt(9)
	v_fmac_f32_e32 v20, v1, v12
	buffer_store_dword v19, off, s[0:3], 0 offset:3556 ; 4-byte Folded Spill
	v_fmac_f32_e32 v21, v1, v10
	s_waitcnt vmcnt(8)
	v_fmac_f32_e32 v20, v2, v13
	v_fmac_f32_e32 v21, v2, v11
	buffer_store_dword v20, off, s[0:3], 0 offset:3560 ; 4-byte Folded Spill
	buffer_store_dword v21, off, s[0:3], 0 offset:3564 ; 4-byte Folded Spill
	s_waitcnt vmcnt(6)
	v_fmac_f32_e32 v22, v0, v4
	s_waitcnt vmcnt(5)
	v_fmac_f32_e32 v22, v1, v5
	;; [unrolled: 2-line block ×4, first 2 shown]
	v_fmac_f32_e32 v23, v1, v15
	buffer_store_dword v22, off, s[0:3], 0 offset:3568 ; 4-byte Folded Spill
	s_clause 0x7
	buffer_load_dword v14, off, s[0:3], 0 offset:2412
	buffer_load_dword v4, off, s[0:3], 0 offset:2400
	;; [unrolled: 1-line block ×8, first 2 shown]
	v_fmac_f32_e32 v23, v2, v16
	s_waitcnt vmcnt(6)
	v_fmac_f32_e32 v14, v0, v4
	s_waitcnt vmcnt(4)
	v_fmac_f32_e32 v17, v0, v5
	s_clause 0x7
	buffer_load_dword v18, off, s[0:3], 0 offset:2444
	buffer_load_dword v4, off, s[0:3], 0 offset:2432
	;; [unrolled: 1-line block ×8, first 2 shown]
	buffer_store_dword v23, off, s[0:3], 0 offset:3572 ; 4-byte Folded Spill
	s_waitcnt vmcnt(9)
	v_fmac_f32_e32 v14, v1, v8
	v_fmac_f32_e32 v17, v1, v6
	s_waitcnt vmcnt(8)
	v_fmac_f32_e32 v14, v2, v9
	v_fmac_f32_e32 v17, v2, v7
	buffer_store_dword v14, off, s[0:3], 0 offset:3576 ; 4-byte Folded Spill
	buffer_store_dword v17, off, s[0:3], 0 offset:3580 ; 4-byte Folded Spill
	s_waitcnt vmcnt(6)
	v_fmac_f32_e32 v18, v0, v4
	s_waitcnt vmcnt(4)
	v_fmac_f32_e32 v19, v0, v5
	;; [unrolled: 2-line block ×5, first 2 shown]
	v_fmac_f32_e32 v19, v2, v12
	buffer_store_dword v18, off, s[0:3], 0 offset:3584 ; 4-byte Folded Spill
	buffer_store_dword v19, off, s[0:3], 0 offset:3588 ; 4-byte Folded Spill
	s_clause 0x7
	buffer_load_dword v18, off, s[0:3], 0 offset:2476
	buffer_load_dword v4, off, s[0:3], 0 offset:2464
	;; [unrolled: 1-line block ×8, first 2 shown]
	s_waitcnt vmcnt(6)
	v_fmac_f32_e32 v18, v0, v4
	s_waitcnt vmcnt(4)
	v_fmac_f32_e32 v19, v0, v5
	s_clause 0x7
	buffer_load_dword v20, off, s[0:3], 0 offset:2508
	buffer_load_dword v4, off, s[0:3], 0 offset:2496
	;; [unrolled: 1-line block ×8, first 2 shown]
	s_waitcnt vmcnt(9)
	v_fmac_f32_e32 v18, v1, v8
	v_fmac_f32_e32 v19, v1, v6
	s_waitcnt vmcnt(8)
	v_fmac_f32_e32 v18, v2, v9
	v_fmac_f32_e32 v19, v2, v7
	s_waitcnt vmcnt(6)
	v_fmac_f32_e32 v20, v0, v4
	s_waitcnt vmcnt(4)
	v_fmac_f32_e32 v21, v0, v5
	s_clause 0x7
	buffer_load_dword v22, off, s[0:3], 0 offset:2540
	buffer_load_dword v4, off, s[0:3], 0 offset:2528
	;; [unrolled: 1-line block ×8, first 2 shown]
	buffer_store_dword v18, off, s[0:3], 0 offset:3592 ; 4-byte Folded Spill
	s_waitcnt vmcnt(9)
	v_fmac_f32_e32 v20, v1, v12
	buffer_store_dword v19, off, s[0:3], 0 offset:3596 ; 4-byte Folded Spill
	v_fmac_f32_e32 v21, v1, v10
	s_waitcnt vmcnt(8)
	v_fmac_f32_e32 v20, v2, v13
	v_fmac_f32_e32 v21, v2, v11
	buffer_store_dword v20, off, s[0:3], 0 offset:3600 ; 4-byte Folded Spill
	buffer_store_dword v21, off, s[0:3], 0 offset:3604 ; 4-byte Folded Spill
	s_waitcnt vmcnt(6)
	v_fmac_f32_e32 v22, v0, v4
	s_waitcnt vmcnt(5)
	v_fmac_f32_e32 v22, v1, v5
	;; [unrolled: 2-line block ×4, first 2 shown]
	v_fmac_f32_e32 v23, v1, v15
	buffer_store_dword v22, off, s[0:3], 0 offset:3608 ; 4-byte Folded Spill
	s_clause 0x7
	buffer_load_dword v14, off, s[0:3], 0 offset:2572
	buffer_load_dword v4, off, s[0:3], 0 offset:2560
	;; [unrolled: 1-line block ×8, first 2 shown]
	v_fmac_f32_e32 v23, v2, v16
	s_waitcnt vmcnt(6)
	v_fmac_f32_e32 v14, v0, v4
	s_waitcnt vmcnt(4)
	v_fmac_f32_e32 v17, v0, v5
	s_clause 0x7
	buffer_load_dword v18, off, s[0:3], 0 offset:2604
	buffer_load_dword v4, off, s[0:3], 0 offset:2592
	;; [unrolled: 1-line block ×8, first 2 shown]
	buffer_store_dword v23, off, s[0:3], 0 offset:3612 ; 4-byte Folded Spill
	s_waitcnt vmcnt(9)
	v_fmac_f32_e32 v14, v1, v8
	v_fmac_f32_e32 v17, v1, v6
	s_waitcnt vmcnt(8)
	v_fmac_f32_e32 v14, v2, v9
	v_fmac_f32_e32 v17, v2, v7
	buffer_store_dword v14, off, s[0:3], 0 offset:3616 ; 4-byte Folded Spill
	buffer_store_dword v17, off, s[0:3], 0 offset:3620 ; 4-byte Folded Spill
	s_waitcnt vmcnt(6)
	v_fmac_f32_e32 v18, v0, v4
	s_waitcnt vmcnt(4)
	v_fmac_f32_e32 v19, v0, v5
	s_waitcnt vmcnt(3)
	v_fmac_f32_e32 v18, v1, v10
	s_waitcnt vmcnt(2)
	v_fmac_f32_e32 v19, v1, v11
	s_waitcnt vmcnt(0)
	v_fmac_f32_e32 v18, v2, v13
	v_fmac_f32_e32 v19, v2, v12
	buffer_store_dword v18, off, s[0:3], 0 offset:3624 ; 4-byte Folded Spill
	buffer_store_dword v19, off, s[0:3], 0 offset:3628 ; 4-byte Folded Spill
	s_clause 0x7
	buffer_load_dword v18, off, s[0:3], 0 offset:2636
	buffer_load_dword v4, off, s[0:3], 0 offset:2624
	;; [unrolled: 1-line block ×8, first 2 shown]
	s_waitcnt vmcnt(6)
	v_fmac_f32_e32 v18, v0, v4
	s_waitcnt vmcnt(4)
	v_fmac_f32_e32 v19, v0, v5
	s_clause 0x7
	buffer_load_dword v27, off, s[0:3], 0 offset:2668
	buffer_load_dword v4, off, s[0:3], 0 offset:2656
	;; [unrolled: 1-line block ×8, first 2 shown]
	s_waitcnt vmcnt(9)
	v_fmac_f32_e32 v18, v1, v8
	v_fmac_f32_e32 v19, v1, v6
	s_waitcnt vmcnt(8)
	v_fmac_f32_e32 v18, v2, v9
	v_fmac_f32_e32 v19, v2, v7
	s_waitcnt vmcnt(6)
	v_fmac_f32_e32 v27, v0, v4
	s_waitcnt vmcnt(4)
	v_fmac_f32_e32 v25, v0, v5
	s_clause 0x7
	buffer_load_dword v26, off, s[0:3], 0 offset:2700
	buffer_load_dword v4, off, s[0:3], 0 offset:2688
	;; [unrolled: 1-line block ×8, first 2 shown]
	buffer_store_dword v18, off, s[0:3], 0 offset:3632 ; 4-byte Folded Spill
	buffer_store_dword v19, off, s[0:3], 0 offset:3636 ; 4-byte Folded Spill
	s_waitcnt vmcnt(9)
	v_fmac_f32_e32 v27, v1, v12
	v_fmac_f32_e32 v25, v1, v10
	s_waitcnt vmcnt(8)
	v_fmac_f32_e32 v27, v2, v13
	v_fmac_f32_e32 v25, v2, v11
	s_waitcnt vmcnt(6)
	v_fmac_f32_e32 v26, v0, v4
	s_waitcnt vmcnt(5)
	v_fmac_f32_e32 v26, v1, v5
	s_clause 0x7
	buffer_load_dword v31, off, s[0:3], 0 offset:2732
	buffer_load_dword v4, off, s[0:3], 0 offset:2720
	;; [unrolled: 1-line block ×8, first 2 shown]
	s_waitcnt vmcnt(9)
	v_fmac_f32_e32 v30, v0, v14
	s_waitcnt vmcnt(8)
	v_fmac_f32_e32 v26, v2, v17
	v_fmac_f32_e32 v30, v1, v15
	;; [unrolled: 1-line block ×3, first 2 shown]
	s_waitcnt vmcnt(6)
	v_fmac_f32_e32 v31, v0, v4
	s_waitcnt vmcnt(4)
	v_fmac_f32_e32 v29, v0, v5
	s_clause 0x7
	buffer_load_dword v32, off, s[0:3], 0 offset:2764
	buffer_load_dword v4, off, s[0:3], 0 offset:2752
	;; [unrolled: 1-line block ×8, first 2 shown]
	s_waitcnt vmcnt(9)
	v_fmac_f32_e32 v31, v1, v8
	v_fmac_f32_e32 v29, v1, v6
	s_waitcnt vmcnt(8)
	v_fmac_f32_e32 v31, v2, v9
	v_fmac_f32_e32 v29, v2, v7
	s_waitcnt vmcnt(6)
	v_fmac_f32_e32 v32, v0, v4
	s_waitcnt vmcnt(4)
	v_fmac_f32_e32 v34, v0, v5
	s_clause 0x7
	buffer_load_dword v35, off, s[0:3], 0 offset:2796
	buffer_load_dword v4, off, s[0:3], 0 offset:2784
	;; [unrolled: 1-line block ×8, first 2 shown]
	s_waitcnt vmcnt(11)
	v_fmac_f32_e32 v32, v1, v10
	s_waitcnt vmcnt(10)
	v_fmac_f32_e32 v34, v1, v11
	;; [unrolled: 2-line block ×3, first 2 shown]
	v_fmac_f32_e32 v34, v2, v12
	s_waitcnt vmcnt(6)
	v_fmac_f32_e32 v35, v0, v4
	s_waitcnt vmcnt(4)
	v_fmac_f32_e32 v33, v0, v5
	s_clause 0x7
	buffer_load_dword v36, off, s[0:3], 0 offset:2828
	buffer_load_dword v4, off, s[0:3], 0 offset:2816
	;; [unrolled: 1-line block ×8, first 2 shown]
	s_waitcnt vmcnt(9)
	v_fmac_f32_e32 v35, v1, v8
	v_fmac_f32_e32 v33, v1, v6
	s_waitcnt vmcnt(8)
	v_fmac_f32_e32 v35, v2, v9
	v_fmac_f32_e32 v33, v2, v7
	s_waitcnt vmcnt(6)
	v_fmac_f32_e32 v36, v0, v4
	s_waitcnt vmcnt(4)
	v_fmac_f32_e32 v38, v0, v5
	s_clause 0x7
	buffer_load_dword v39, off, s[0:3], 0 offset:2860
	buffer_load_dword v4, off, s[0:3], 0 offset:2848
	;; [unrolled: 1-line block ×8, first 2 shown]
	s_waitcnt vmcnt(9)
	v_fmac_f32_e32 v36, v1, v12
	v_fmac_f32_e32 v38, v1, v10
	s_waitcnt vmcnt(8)
	v_fmac_f32_e32 v36, v2, v13
	v_fmac_f32_e32 v38, v2, v11
	s_waitcnt vmcnt(6)
	v_fmac_f32_e32 v39, v0, v4
	s_waitcnt vmcnt(5)
	v_fmac_f32_e32 v39, v1, v5
	s_clause 0x7
	buffer_load_dword v41, off, s[0:3], 0 offset:2892
	buffer_load_dword v4, off, s[0:3], 0 offset:2880
	;; [unrolled: 1-line block ×8, first 2 shown]
	s_waitcnt vmcnt(9)
	v_fmac_f32_e32 v40, v0, v14
	s_waitcnt vmcnt(8)
	v_fmac_f32_e32 v39, v2, v17
	v_fmac_f32_e32 v40, v1, v15
	v_fmac_f32_e32 v40, v2, v16
	s_waitcnt vmcnt(6)
	v_fmac_f32_e32 v41, v0, v4
	s_waitcnt vmcnt(4)
	v_fmac_f32_e32 v42, v0, v5
	s_clause 0x7
	buffer_load_dword v43, off, s[0:3], 0 offset:2924
	buffer_load_dword v4, off, s[0:3], 0 offset:2912
	;; [unrolled: 1-line block ×8, first 2 shown]
	s_waitcnt vmcnt(9)
	v_fmac_f32_e32 v41, v1, v8
	v_fmac_f32_e32 v42, v1, v6
	s_waitcnt vmcnt(8)
	v_fmac_f32_e32 v41, v2, v9
	v_fmac_f32_e32 v42, v2, v7
	s_waitcnt vmcnt(6)
	v_fmac_f32_e32 v43, v0, v4
	s_waitcnt vmcnt(4)
	v_fmac_f32_e32 v44, v0, v5
	s_clause 0x7
	buffer_load_dword v45, off, s[0:3], 0 offset:2956
	buffer_load_dword v4, off, s[0:3], 0 offset:2944
	;; [unrolled: 1-line block ×8, first 2 shown]
	s_waitcnt vmcnt(11)
	v_fmac_f32_e32 v43, v1, v10
	s_waitcnt vmcnt(10)
	v_fmac_f32_e32 v44, v1, v11
	;; [unrolled: 2-line block ×3, first 2 shown]
	v_fmac_f32_e32 v44, v2, v12
	s_waitcnt vmcnt(6)
	v_fmac_f32_e32 v45, v0, v4
	s_waitcnt vmcnt(4)
	v_fmac_f32_e32 v46, v0, v5
	s_clause 0x7
	buffer_load_dword v47, off, s[0:3], 0 offset:2988
	buffer_load_dword v4, off, s[0:3], 0 offset:2976
	;; [unrolled: 1-line block ×8, first 2 shown]
	s_waitcnt vmcnt(9)
	v_fmac_f32_e32 v45, v1, v8
	v_fmac_f32_e32 v46, v1, v6
	s_waitcnt vmcnt(8)
	v_fmac_f32_e32 v45, v2, v9
	v_fmac_f32_e32 v46, v2, v7
	s_waitcnt vmcnt(6)
	v_fmac_f32_e32 v47, v0, v4
	s_waitcnt vmcnt(4)
	v_fmac_f32_e32 v48, v0, v5
	s_clause 0x7
	buffer_load_dword v49, off, s[0:3], 0 offset:3020
	buffer_load_dword v4, off, s[0:3], 0 offset:3008
	;; [unrolled: 1-line block ×8, first 2 shown]
	s_waitcnt vmcnt(9)
	v_fmac_f32_e32 v47, v1, v12
	v_fmac_f32_e32 v48, v1, v10
	s_waitcnt vmcnt(8)
	v_fmac_f32_e32 v47, v2, v13
	v_fmac_f32_e32 v48, v2, v11
	s_waitcnt vmcnt(6)
	v_fmac_f32_e32 v49, v0, v4
	s_waitcnt vmcnt(5)
	v_fmac_f32_e32 v49, v1, v5
	s_clause 0x7
	buffer_load_dword v51, off, s[0:3], 0 offset:3052
	buffer_load_dword v4, off, s[0:3], 0 offset:3040
	;; [unrolled: 1-line block ×8, first 2 shown]
	s_waitcnt vmcnt(9)
	v_fmac_f32_e32 v50, v0, v14
	s_waitcnt vmcnt(8)
	v_fmac_f32_e32 v49, v2, v17
	v_fmac_f32_e32 v50, v1, v15
	;; [unrolled: 1-line block ×3, first 2 shown]
	s_waitcnt vmcnt(6)
	v_fmac_f32_e32 v51, v0, v4
	s_waitcnt vmcnt(4)
	v_fmac_f32_e32 v52, v0, v5
	s_clause 0x7
	buffer_load_dword v53, off, s[0:3], 0 offset:3084
	buffer_load_dword v4, off, s[0:3], 0 offset:3072
	;; [unrolled: 1-line block ×8, first 2 shown]
	s_waitcnt vmcnt(9)
	v_fmac_f32_e32 v51, v1, v8
	v_fmac_f32_e32 v52, v1, v6
	s_waitcnt vmcnt(8)
	v_fmac_f32_e32 v51, v2, v9
	v_fmac_f32_e32 v52, v2, v7
	s_waitcnt vmcnt(6)
	v_fmac_f32_e32 v53, v0, v4
	s_waitcnt vmcnt(4)
	v_fmac_f32_e32 v54, v0, v5
	s_clause 0x7
	buffer_load_dword v55, off, s[0:3], 0 offset:3116
	buffer_load_dword v4, off, s[0:3], 0 offset:3104
	;; [unrolled: 1-line block ×8, first 2 shown]
	s_waitcnt vmcnt(11)
	v_fmac_f32_e32 v53, v1, v10
	s_waitcnt vmcnt(10)
	v_fmac_f32_e32 v54, v1, v11
	;; [unrolled: 2-line block ×3, first 2 shown]
	v_fmac_f32_e32 v54, v2, v12
	s_waitcnt vmcnt(6)
	v_fmac_f32_e32 v55, v0, v4
	s_waitcnt vmcnt(4)
	v_fmac_f32_e32 v56, v0, v5
	s_clause 0x7
	buffer_load_dword v57, off, s[0:3], 0 offset:3148
	buffer_load_dword v4, off, s[0:3], 0 offset:3136
	buffer_load_dword v5, off, s[0:3], 0 offset:3152
	buffer_load_dword v58, off, s[0:3], 0 offset:3164
	buffer_load_dword v10, off, s[0:3], 0 offset:3156
	buffer_load_dword v11, off, s[0:3], 0 offset:3160
	buffer_load_dword v12, off, s[0:3], 0 offset:3140
	buffer_load_dword v13, off, s[0:3], 0 offset:3144
	s_waitcnt vmcnt(9)
	v_fmac_f32_e32 v55, v1, v8
	v_fmac_f32_e32 v56, v1, v6
	s_waitcnt vmcnt(8)
	v_fmac_f32_e32 v55, v2, v9
	v_fmac_f32_e32 v56, v2, v7
	s_waitcnt vmcnt(6)
	v_fmac_f32_e32 v57, v0, v4
	s_waitcnt vmcnt(4)
	v_fmac_f32_e32 v58, v0, v5
	s_clause 0x7
	buffer_load_dword v59, off, s[0:3], 0 offset:3180
	buffer_load_dword v4, off, s[0:3], 0 offset:3168
	;; [unrolled: 1-line block ×8, first 2 shown]
	s_waitcnt vmcnt(9)
	v_fmac_f32_e32 v57, v1, v12
	v_fmac_f32_e32 v58, v1, v10
	s_waitcnt vmcnt(8)
	v_fmac_f32_e32 v57, v2, v13
	v_fmac_f32_e32 v58, v2, v11
	s_waitcnt vmcnt(6)
	v_fmac_f32_e32 v59, v0, v4
	s_waitcnt vmcnt(5)
	v_fmac_f32_e32 v59, v1, v5
	s_clause 0x7
	buffer_load_dword v61, off, s[0:3], 0 offset:3212
	buffer_load_dword v4, off, s[0:3], 0 offset:3200
	buffer_load_dword v5, off, s[0:3], 0 offset:3216
	buffer_load_dword v62, off, s[0:3], 0 offset:3228
	buffer_load_dword v6, off, s[0:3], 0 offset:3220
	buffer_load_dword v7, off, s[0:3], 0 offset:3224
	buffer_load_dword v8, off, s[0:3], 0 offset:3204
	buffer_load_dword v9, off, s[0:3], 0 offset:3208
	s_waitcnt vmcnt(9)
	v_fmac_f32_e32 v60, v0, v14
	s_waitcnt vmcnt(8)
	v_fmac_f32_e32 v59, v2, v17
	v_fmac_f32_e32 v60, v1, v15
	;; [unrolled: 1-line block ×3, first 2 shown]
	s_waitcnt vmcnt(6)
	v_fmac_f32_e32 v61, v0, v4
	s_waitcnt vmcnt(4)
	v_fmac_f32_e32 v62, v0, v5
	s_clause 0x7
	buffer_load_dword v80, off, s[0:3], 0 offset:3244
	buffer_load_dword v4, off, s[0:3], 0 offset:3232
	buffer_load_dword v5, off, s[0:3], 0 offset:3248
	buffer_load_dword v81, off, s[0:3], 0 offset:3260
	buffer_load_dword v10, off, s[0:3], 0 offset:3236
	buffer_load_dword v11, off, s[0:3], 0 offset:3252
	buffer_load_dword v12, off, s[0:3], 0 offset:3256
	buffer_load_dword v13, off, s[0:3], 0 offset:3240
	s_waitcnt vmcnt(9)
	v_fmac_f32_e32 v61, v1, v8
	v_fmac_f32_e32 v62, v1, v6
	s_waitcnt vmcnt(8)
	v_fmac_f32_e32 v61, v2, v9
	v_fmac_f32_e32 v62, v2, v7
	s_waitcnt vmcnt(6)
	v_fmac_f32_e32 v80, v0, v4
	s_waitcnt vmcnt(4)
	v_fmac_f32_e32 v81, v0, v5
	s_clause 0x7
	buffer_load_dword v84, off, s[0:3], 0 offset:3276
	buffer_load_dword v4, off, s[0:3], 0 offset:3264
	;; [unrolled: 1-line block ×8, first 2 shown]
	s_waitcnt vmcnt(11)
	v_fmac_f32_e32 v80, v1, v10
	s_waitcnt vmcnt(10)
	v_fmac_f32_e32 v81, v1, v11
	;; [unrolled: 2-line block ×3, first 2 shown]
	v_fmac_f32_e32 v81, v2, v12
	s_waitcnt vmcnt(6)
	v_fmac_f32_e32 v84, v0, v4
	s_waitcnt vmcnt(4)
	v_fmac_f32_e32 v85, v0, v5
	s_clause 0x7
	buffer_load_dword v86, off, s[0:3], 0 offset:3308
	buffer_load_dword v4, off, s[0:3], 0 offset:3296
	;; [unrolled: 1-line block ×8, first 2 shown]
	s_waitcnt vmcnt(9)
	v_fmac_f32_e32 v84, v1, v8
	v_fmac_f32_e32 v85, v1, v6
	s_waitcnt vmcnt(8)
	v_fmac_f32_e32 v84, v2, v9
	v_fmac_f32_e32 v85, v2, v7
	s_waitcnt vmcnt(6)
	v_fmac_f32_e32 v86, v0, v4
	s_waitcnt vmcnt(4)
	v_fmac_f32_e32 v87, v0, v5
	s_clause 0x3
	buffer_load_dword v88, off, s[0:3], 0 offset:3340
	buffer_load_dword v4, off, s[0:3], 0 offset:3328
	;; [unrolled: 1-line block ×4, first 2 shown]
	s_waitcnt vmcnt(5)
	v_fmac_f32_e32 v86, v1, v12
	v_fmac_f32_e32 v87, v1, v10
	s_waitcnt vmcnt(4)
	v_fmac_f32_e32 v86, v2, v13
	v_fmac_f32_e32 v87, v2, v11
	s_waitcnt vmcnt(2)
	v_fmac_f32_e32 v88, v0, v4
	v_ashrrev_i32_e32 v4, 31, v3
	s_waitcnt vmcnt(1)
	v_fmac_f32_e32 v88, v1, v5
	s_clause 0x1
	buffer_load_dword v5, off, s[0:3], 0 offset:3940
	buffer_load_dword v6, off, s[0:3], 0 offset:3952
	s_waitcnt vmcnt(2)
	v_fmac_f32_e32 v88, v2, v14
	s_waitcnt vmcnt(0)
	v_fma_f32 v7, v0, v5, v6
	buffer_load_dword v5, off, s[0:3], 0 offset:3944 ; 4-byte Folded Reload
	s_waitcnt vmcnt(0)
	v_fmac_f32_e32 v7, v1, v5
	s_clause 0x1
	buffer_load_dword v5, off, s[0:3], 0 offset:3956
	buffer_load_dword v6, off, s[0:3], 0 offset:3968
	s_waitcnt vmcnt(0)
	v_fma_f32 v8, v0, v5, v6
	buffer_load_dword v5, off, s[0:3], 0 offset:3960 ; 4-byte Folded Reload
	s_waitcnt vmcnt(0)
	v_fmac_f32_e32 v8, v1, v5
	s_clause 0x1
	buffer_load_dword v5, off, s[0:3], 0 offset:3972
	buffer_load_dword v6, off, s[0:3], 0 offset:3984
	;; [unrolled: 8-line block ×4, first 2 shown]
	s_waitcnt vmcnt(0)
	v_fma_f32 v6, v0, v6, v5
	buffer_load_dword v5, off, s[0:3], 0 offset:4012 ; 4-byte Folded Reload
	s_waitcnt vmcnt(0)
	v_fmac_f32_e32 v6, v1, v5
	buffer_load_dword v5, off, s[0:3], 0 offset:3948 ; 4-byte Folded Reload
	s_waitcnt vmcnt(0)
	v_fmac_f32_e32 v7, v2, v5
	buffer_load_dword v5, off, s[0:3], 0 offset:3964 ; 4-byte Folded Reload
	buffer_store_dword v7, off, s[0:3], 0 offset:3640 ; 4-byte Folded Spill
	s_waitcnt vmcnt(0)
	v_fmac_f32_e32 v8, v2, v5
	buffer_load_dword v5, off, s[0:3], 0 offset:3980 ; 4-byte Folded Reload
	buffer_store_dword v8, off, s[0:3], 0 offset:3644 ; 4-byte Folded Spill
	;; [unrolled: 4-line block ×4, first 2 shown]
	s_waitcnt vmcnt(0)
	v_fmac_f32_e32 v6, v2, v5
	buffer_store_dword v6, off, s[0:3], 0 offset:3656 ; 4-byte Folded Spill
	s_clause 0x1
	buffer_load_dword v5, off, s[0:3], 0 offset:4016
	buffer_load_dword v6, off, s[0:3], 0 offset:4020
	s_waitcnt vmcnt(0)
	v_fma_f32 v7, v0, v6, v5
	buffer_load_dword v5, off, s[0:3], 0 offset:4024 ; 4-byte Folded Reload
	s_waitcnt vmcnt(0)
	v_fmac_f32_e32 v7, v1, v5
	s_clause 0x1
	buffer_load_dword v5, off, s[0:3], 0 offset:4036
	buffer_load_dword v6, off, s[0:3], 0 offset:4040
	s_waitcnt vmcnt(0)
	v_fma_f32 v8, v0, v6, v5
	buffer_load_dword v5, off, s[0:3], 0 offset:4044 ; 4-byte Folded Reload
	s_waitcnt vmcnt(0)
	v_fmac_f32_e32 v8, v1, v5
	s_clause 0x1
	buffer_load_dword v5, off, s[0:3], 0 offset:4048
	buffer_load_dword v6, off, s[0:3], 0 offset:4052
	s_waitcnt vmcnt(0)
	v_fma_f32 v9, v0, v6, v5
	buffer_load_dword v5, off, s[0:3], 0 offset:4056 ; 4-byte Folded Reload
	s_waitcnt vmcnt(0)
	v_fmac_f32_e32 v9, v1, v5
	s_clause 0x1
	buffer_load_dword v5, off, s[0:3], 0 offset:4068
	buffer_load_dword v6, off, s[0:3], 0 offset:4072
	s_waitcnt vmcnt(0)
	v_fma_f32 v10, v0, v6, v5
	buffer_load_dword v5, off, s[0:3], 0 offset:4076 ; 4-byte Folded Reload
	s_waitcnt vmcnt(0)
	v_fmac_f32_e32 v10, v1, v5
	s_clause 0x1
	buffer_load_dword v5, off, s[0:3], 0 offset:4080
	buffer_load_dword v6, off, s[0:3], 0 offset:4084
	s_waitcnt vmcnt(0)
	v_fma_f32 v6, v0, v6, v5
	buffer_load_dword v5, off, s[0:3], 0 offset:4088 ; 4-byte Folded Reload
	s_waitcnt vmcnt(0)
	v_fmac_f32_e32 v6, v1, v5
	buffer_load_dword v5, off, s[0:3], 0 offset:4028 ; 4-byte Folded Reload
	s_waitcnt vmcnt(0)
	v_fmac_f32_e32 v7, v2, v5
	buffer_load_dword v5, off, s[0:3], 0 offset:4064 ; 4-byte Folded Reload
	buffer_store_dword v7, off, s[0:3], 0 offset:3660 ; 4-byte Folded Spill
	s_waitcnt vmcnt(0)
	v_fmac_f32_e32 v8, v2, v5
	buffer_load_dword v5, off, s[0:3], 0 offset:4060 ; 4-byte Folded Reload
	buffer_store_dword v8, off, s[0:3], 0 offset:3664 ; 4-byte Folded Spill
	s_waitcnt vmcnt(0)
	v_fmac_f32_e32 v9, v2, v5
	buffer_load_dword v5, off, s[0:3], s4   ; 4-byte Folded Reload
	s_mov_b32 s4, 0x20080
	buffer_store_dword v9, off, s[0:3], 0 offset:3668 ; 4-byte Folded Spill
	s_waitcnt vmcnt(0)
	v_fmac_f32_e32 v10, v2, v5
	buffer_load_dword v5, off, s[0:3], 0 offset:4092 ; 4-byte Folded Reload
	buffer_store_dword v10, off, s[0:3], 0 offset:3672 ; 4-byte Folded Spill
	s_waitcnt vmcnt(0)
	v_fmac_f32_e32 v6, v2, v5
	buffer_load_dword v5, off, s[0:3], s4   ; 4-byte Folded Reload
	s_mov_b32 s4, 0x20100
	buffer_store_dword v6, off, s[0:3], 0 offset:3676 ; 4-byte Folded Spill
	buffer_load_dword v6, off, s[0:3], s4   ; 4-byte Folded Reload
	s_mov_b32 s4, 0x20180
	s_waitcnt vmcnt(0)
	v_fma_f32 v7, v0, v6, v5
	buffer_load_dword v5, off, s[0:3], s4   ; 4-byte Folded Reload
	s_mov_b32 s4, 0x20200
	s_waitcnt vmcnt(0)
	v_fmac_f32_e32 v7, v1, v5
	buffer_load_dword v5, off, s[0:3], s4   ; 4-byte Folded Reload
	s_mov_b32 s4, 0x20280
	buffer_load_dword v6, off, s[0:3], s4   ; 4-byte Folded Reload
	s_mov_b32 s4, 0x20300
	s_waitcnt vmcnt(0)
	v_fma_f32 v8, v0, v6, v5
	buffer_load_dword v5, off, s[0:3], s4   ; 4-byte Folded Reload
	s_mov_b32 s4, 0x20480
	s_waitcnt vmcnt(0)
	v_fmac_f32_e32 v8, v1, v5
	buffer_load_dword v5, off, s[0:3], s4   ; 4-byte Folded Reload
	s_mov_b32 s4, 0x20500
	;; [unrolled: 10-line block ×5, first 2 shown]
	s_waitcnt vmcnt(0)
	v_fmac_f32_e32 v7, v2, v5
	buffer_load_dword v5, off, s[0:3], s4   ; 4-byte Folded Reload
	s_mov_b32 s4, 0x20800
	buffer_store_dword v7, off, s[0:3], 0 offset:3680 ; 4-byte Folded Spill
	s_waitcnt vmcnt(0)
	v_fmac_f32_e32 v8, v2, v5
	buffer_load_dword v5, off, s[0:3], s4   ; 4-byte Folded Reload
	s_mov_b32 s4, 0x20780
	buffer_store_dword v8, off, s[0:3], 0 offset:3684 ; 4-byte Folded Spill
	s_waitcnt vmcnt(0)
	v_fmac_f32_e32 v9, v2, v5
	buffer_load_dword v5, off, s[0:3], s4   ; 4-byte Folded Reload
	s_mov_b32 s4, 0x20c00
	buffer_store_dword v9, off, s[0:3], 0 offset:3688 ; 4-byte Folded Spill
	s_waitcnt vmcnt(0)
	v_fmac_f32_e32 v10, v2, v5
	buffer_load_dword v5, off, s[0:3], s4   ; 4-byte Folded Reload
	s_mov_b32 s4, 0x20a00
	buffer_store_dword v10, off, s[0:3], 0 offset:3692 ; 4-byte Folded Spill
	s_waitcnt vmcnt(0)
	v_fmac_f32_e32 v6, v2, v5
	buffer_load_dword v5, off, s[0:3], s4   ; 4-byte Folded Reload
	s_mov_b32 s4, 0x20a80
	buffer_store_dword v6, off, s[0:3], 0 offset:3696 ; 4-byte Folded Spill
	buffer_load_dword v6, off, s[0:3], s4   ; 4-byte Folded Reload
	s_mov_b32 s4, 0x20b00
	s_waitcnt vmcnt(0)
	v_fma_f32 v7, v0, v6, v5
	buffer_load_dword v5, off, s[0:3], s4   ; 4-byte Folded Reload
	s_mov_b32 s4, 0x20c80
	s_waitcnt vmcnt(0)
	v_fmac_f32_e32 v7, v1, v5
	buffer_load_dword v5, off, s[0:3], s4   ; 4-byte Folded Reload
	s_mov_b32 s4, 0x20d00
	buffer_load_dword v6, off, s[0:3], s4   ; 4-byte Folded Reload
	s_mov_b32 s4, 0x20d80
	s_waitcnt vmcnt(0)
	v_fma_f32 v8, v0, v6, v5
	buffer_load_dword v5, off, s[0:3], s4   ; 4-byte Folded Reload
	s_mov_b32 s4, 0x20e00
	s_waitcnt vmcnt(0)
	v_fmac_f32_e32 v8, v1, v5
	buffer_load_dword v5, off, s[0:3], s4   ; 4-byte Folded Reload
	s_mov_b32 s4, 0x20e80
	;; [unrolled: 10-line block ×5, first 2 shown]
	s_waitcnt vmcnt(0)
	v_fmac_f32_e32 v7, v2, v5
	buffer_load_dword v5, off, s[0:3], s4   ; 4-byte Folded Reload
	s_mov_b32 s4, 0x20f80
	buffer_store_dword v7, off, s[0:3], 0 offset:3700 ; 4-byte Folded Spill
	s_waitcnt vmcnt(0)
	v_fmac_f32_e32 v8, v2, v5
	buffer_load_dword v5, off, s[0:3], s4   ; 4-byte Folded Reload
	s_mov_b32 s4, 0x21400
	buffer_store_dword v8, off, s[0:3], 0 offset:3704 ; 4-byte Folded Spill
	;; [unrolled: 5-line block ×5, first 2 shown]
	buffer_load_dword v6, off, s[0:3], s4   ; 4-byte Folded Reload
	s_mov_b32 s4, 0x21580
	s_waitcnt vmcnt(0)
	v_fma_f32 v7, v0, v6, v5
	buffer_load_dword v5, off, s[0:3], s4   ; 4-byte Folded Reload
	s_mov_b32 s4, 0x21600
	s_waitcnt vmcnt(0)
	v_fmac_f32_e32 v7, v1, v5
	buffer_load_dword v5, off, s[0:3], s4   ; 4-byte Folded Reload
	s_mov_b32 s4, 0x21680
	buffer_load_dword v6, off, s[0:3], s4   ; 4-byte Folded Reload
	s_mov_b32 s4, 0x21700
	s_waitcnt vmcnt(0)
	v_fma_f32 v8, v0, v6, v5
	buffer_load_dword v5, off, s[0:3], s4   ; 4-byte Folded Reload
	s_mov_b32 s4, 0x21880
	s_waitcnt vmcnt(0)
	v_fmac_f32_e32 v8, v1, v5
	buffer_load_dword v5, off, s[0:3], s4   ; 4-byte Folded Reload
	s_mov_b32 s4, 0x21900
	;; [unrolled: 10-line block ×5, first 2 shown]
	s_waitcnt vmcnt(0)
	v_fmac_f32_e32 v7, v2, v5
	buffer_load_dword v5, off, s[0:3], s4   ; 4-byte Folded Reload
	s_mov_b32 s4, 0x21c00
	buffer_store_dword v7, off, s[0:3], 0 offset:3720 ; 4-byte Folded Spill
	s_waitcnt vmcnt(0)
	v_fmac_f32_e32 v8, v2, v5
	buffer_load_dword v5, off, s[0:3], s4   ; 4-byte Folded Reload
	s_mov_b32 s4, 0x21b80
	buffer_store_dword v8, off, s[0:3], 0 offset:3724 ; 4-byte Folded Spill
	;; [unrolled: 5-line block ×5, first 2 shown]
	buffer_load_dword v6, off, s[0:3], s4   ; 4-byte Folded Reload
	s_mov_b32 s4, 0x21f00
	s_waitcnt vmcnt(0)
	v_fma_f32 v7, v0, v6, v5
	buffer_load_dword v5, off, s[0:3], s4   ; 4-byte Folded Reload
	s_mov_b32 s4, 0x22080
	s_waitcnt vmcnt(0)
	v_fmac_f32_e32 v7, v1, v5
	buffer_load_dword v5, off, s[0:3], s4   ; 4-byte Folded Reload
	s_mov_b32 s4, 0x22100
	buffer_load_dword v6, off, s[0:3], s4   ; 4-byte Folded Reload
	s_mov_b32 s4, 0x22180
	s_waitcnt vmcnt(0)
	v_fma_f32 v8, v0, v6, v5
	buffer_load_dword v5, off, s[0:3], s4   ; 4-byte Folded Reload
	s_mov_b32 s4, 0x22200
	s_waitcnt vmcnt(0)
	v_fmac_f32_e32 v8, v1, v5
	buffer_load_dword v5, off, s[0:3], s4   ; 4-byte Folded Reload
	s_mov_b32 s4, 0x22280
	;; [unrolled: 10-line block ×5, first 2 shown]
	s_waitcnt vmcnt(0)
	v_fmac_f32_e32 v7, v2, v5
	buffer_load_dword v5, off, s[0:3], s4   ; 4-byte Folded Reload
	s_mov_b32 s4, 0x22380
	buffer_store_dword v7, off, s[0:3], 0 offset:3740 ; 4-byte Folded Spill
	s_waitcnt vmcnt(0)
	v_fmac_f32_e32 v8, v2, v5
	buffer_load_dword v5, off, s[0:3], s4   ; 4-byte Folded Reload
	s_mov_b32 s4, 0x22800
	buffer_store_dword v8, off, s[0:3], 0 offset:3744 ; 4-byte Folded Spill
	;; [unrolled: 5-line block ×5, first 2 shown]
	buffer_load_dword v6, off, s[0:3], s4   ; 4-byte Folded Reload
	s_mov_b32 s4, 0x22980
	s_waitcnt vmcnt(0)
	v_fma_f32 v7, v0, v6, v5
	buffer_load_dword v5, off, s[0:3], s4   ; 4-byte Folded Reload
	s_mov_b32 s4, 0x22a00
	s_waitcnt vmcnt(0)
	v_fmac_f32_e32 v7, v1, v5
	buffer_load_dword v5, off, s[0:3], s4   ; 4-byte Folded Reload
	s_mov_b32 s4, 0x22a80
	buffer_load_dword v6, off, s[0:3], s4   ; 4-byte Folded Reload
	s_mov_b32 s4, 0x22b00
	s_waitcnt vmcnt(0)
	v_fma_f32 v8, v0, v6, v5
	buffer_load_dword v5, off, s[0:3], s4   ; 4-byte Folded Reload
	s_mov_b32 s4, 0x22c80
	s_waitcnt vmcnt(0)
	v_fmac_f32_e32 v8, v1, v5
	buffer_load_dword v5, off, s[0:3], s4   ; 4-byte Folded Reload
	s_mov_b32 s4, 0x22d00
	;; [unrolled: 10-line block ×5, first 2 shown]
	s_waitcnt vmcnt(0)
	v_fmac_f32_e32 v7, v2, v5
	buffer_load_dword v5, off, s[0:3], s4   ; 4-byte Folded Reload
	s_mov_b32 s4, 0x23000
	buffer_store_dword v7, off, s[0:3], 0 offset:3760 ; 4-byte Folded Spill
	s_waitcnt vmcnt(0)
	v_fmac_f32_e32 v8, v2, v5
	buffer_load_dword v5, off, s[0:3], s4   ; 4-byte Folded Reload
	s_mov_b32 s4, 0x22f80
	buffer_store_dword v8, off, s[0:3], 0 offset:3764 ; 4-byte Folded Spill
	s_waitcnt vmcnt(0)
	v_fmac_f32_e32 v9, v2, v5
	buffer_load_dword v5, off, s[0:3], s4   ; 4-byte Folded Reload
	s_mov_b32 s4, 0x23400
	buffer_store_dword v9, off, s[0:3], 0 offset:3768 ; 4-byte Folded Spill
	s_waitcnt vmcnt(0)
	v_fmac_f32_e32 v10, v2, v5
	buffer_load_dword v5, off, s[0:3], s4   ; 4-byte Folded Reload
	s_mov_b32 s4, 0x23200
	buffer_store_dword v10, off, s[0:3], 0 offset:3772 ; 4-byte Folded Spill
	s_waitcnt vmcnt(0)
	v_fmac_f32_e32 v6, v2, v5
	buffer_load_dword v5, off, s[0:3], s4   ; 4-byte Folded Reload
	s_mov_b32 s4, 0x23280
	buffer_store_dword v6, off, s[0:3], 0 offset:3776 ; 4-byte Folded Spill
	buffer_load_dword v6, off, s[0:3], s4   ; 4-byte Folded Reload
	s_mov_b32 s4, 0x23300
	s_waitcnt vmcnt(0)
	v_fma_f32 v7, v0, v6, v5
	buffer_load_dword v5, off, s[0:3], s4   ; 4-byte Folded Reload
	s_mov_b32 s4, 0x23480
	s_waitcnt vmcnt(0)
	v_fmac_f32_e32 v7, v1, v5
	buffer_load_dword v5, off, s[0:3], s4   ; 4-byte Folded Reload
	s_mov_b32 s4, 0x23500
	buffer_load_dword v6, off, s[0:3], s4   ; 4-byte Folded Reload
	s_mov_b32 s4, 0x23580
	s_waitcnt vmcnt(0)
	v_fma_f32 v8, v0, v6, v5
	buffer_load_dword v5, off, s[0:3], s4   ; 4-byte Folded Reload
	s_mov_b32 s4, 0x23600
	s_waitcnt vmcnt(0)
	v_fmac_f32_e32 v8, v1, v5
	buffer_load_dword v5, off, s[0:3], s4   ; 4-byte Folded Reload
	s_mov_b32 s4, 0x23680
	;; [unrolled: 10-line block ×5, first 2 shown]
	s_waitcnt vmcnt(0)
	v_fmac_f32_e32 v7, v2, v5
	buffer_load_dword v5, off, s[0:3], s4   ; 4-byte Folded Reload
	s_mov_b32 s4, 0x23780
	buffer_store_dword v7, off, s[0:3], 0 offset:3780 ; 4-byte Folded Spill
	s_waitcnt vmcnt(0)
	v_fmac_f32_e32 v8, v2, v5
	buffer_load_dword v5, off, s[0:3], s4   ; 4-byte Folded Reload
	s_mov_b32 s4, 0x23c00
	buffer_store_dword v8, off, s[0:3], 0 offset:3784 ; 4-byte Folded Spill
	;; [unrolled: 5-line block ×5, first 2 shown]
	buffer_load_dword v6, off, s[0:3], s4   ; 4-byte Folded Reload
	s_mov_b32 s4, 0x23d80
	s_waitcnt vmcnt(0)
	v_fma_f32 v7, v0, v6, v5
	buffer_load_dword v5, off, s[0:3], s4   ; 4-byte Folded Reload
	s_mov_b32 s4, 0x23e00
	s_waitcnt vmcnt(0)
	v_fmac_f32_e32 v7, v1, v5
	buffer_load_dword v5, off, s[0:3], s4   ; 4-byte Folded Reload
	s_mov_b32 s4, 0x23e80
	buffer_load_dword v6, off, s[0:3], s4   ; 4-byte Folded Reload
	s_mov_b32 s4, 0x23f00
	s_waitcnt vmcnt(0)
	v_fma_f32 v8, v0, v6, v5
	buffer_load_dword v5, off, s[0:3], s4   ; 4-byte Folded Reload
	s_mov_b32 s4, 0x24080
	s_waitcnt vmcnt(0)
	v_fmac_f32_e32 v8, v1, v5
	buffer_load_dword v5, off, s[0:3], s4   ; 4-byte Folded Reload
	s_mov_b32 s4, 0x24100
	;; [unrolled: 10-line block ×5, first 2 shown]
	s_waitcnt vmcnt(0)
	v_fmac_f32_e32 v7, v2, v5
	buffer_load_dword v5, off, s[0:3], s4   ; 4-byte Folded Reload
	s_mov_b32 s4, 0x24400
	buffer_store_dword v7, off, s[0:3], 0 offset:3800 ; 4-byte Folded Spill
	s_waitcnt vmcnt(0)
	v_fmac_f32_e32 v8, v2, v5
	buffer_load_dword v5, off, s[0:3], s4   ; 4-byte Folded Reload
	s_mov_b32 s4, 0x24380
	buffer_store_dword v8, off, s[0:3], 0 offset:3804 ; 4-byte Folded Spill
	;; [unrolled: 5-line block ×5, first 2 shown]
	buffer_load_dword v6, off, s[0:3], s4   ; 4-byte Folded Reload
	s_mov_b32 s4, 0x24700
	s_waitcnt vmcnt(0)
	v_fma_f32 v7, v0, v6, v5
	buffer_load_dword v5, off, s[0:3], s4   ; 4-byte Folded Reload
	s_mov_b32 s4, 0x24880
	s_waitcnt vmcnt(0)
	v_fmac_f32_e32 v7, v1, v5
	buffer_load_dword v5, off, s[0:3], s4   ; 4-byte Folded Reload
	s_mov_b32 s4, 0x24900
	buffer_load_dword v6, off, s[0:3], s4   ; 4-byte Folded Reload
	s_mov_b32 s4, 0x24980
	s_waitcnt vmcnt(0)
	v_fma_f32 v8, v0, v6, v5
	buffer_load_dword v5, off, s[0:3], s4   ; 4-byte Folded Reload
	s_mov_b32 s4, 0x24a00
	s_waitcnt vmcnt(0)
	v_fmac_f32_e32 v8, v1, v5
	buffer_load_dword v5, off, s[0:3], s4   ; 4-byte Folded Reload
	s_mov_b32 s4, 0x24a80
	;; [unrolled: 10-line block ×5, first 2 shown]
	s_waitcnt vmcnt(0)
	v_fmac_f32_e32 v7, v2, v5
	buffer_load_dword v5, off, s[0:3], s4   ; 4-byte Folded Reload
	s_mov_b32 s4, 0x24b80
	buffer_store_dword v7, off, s[0:3], 0 offset:3820 ; 4-byte Folded Spill
	s_waitcnt vmcnt(0)
	v_fmac_f32_e32 v8, v2, v5
	buffer_load_dword v5, off, s[0:3], s4   ; 4-byte Folded Reload
	s_mov_b32 s4, 0x25000
	buffer_store_dword v8, off, s[0:3], 0 offset:3824 ; 4-byte Folded Spill
	;; [unrolled: 5-line block ×5, first 2 shown]
	buffer_load_dword v6, off, s[0:3], s4   ; 4-byte Folded Reload
	s_mov_b32 s4, 0x25180
	s_waitcnt vmcnt(0)
	v_fma_f32 v7, v0, v6, v5
	buffer_load_dword v5, off, s[0:3], s4   ; 4-byte Folded Reload
	s_mov_b32 s4, 0x25200
	s_waitcnt vmcnt(0)
	v_fmac_f32_e32 v7, v1, v5
	buffer_load_dword v5, off, s[0:3], s4   ; 4-byte Folded Reload
	s_mov_b32 s4, 0x25280
	buffer_load_dword v6, off, s[0:3], s4   ; 4-byte Folded Reload
	s_mov_b32 s4, 0x25300
	s_waitcnt vmcnt(0)
	v_fma_f32 v8, v0, v6, v5
	buffer_load_dword v5, off, s[0:3], s4   ; 4-byte Folded Reload
	s_mov_b32 s4, 0x25480
	s_waitcnt vmcnt(0)
	v_fmac_f32_e32 v8, v1, v5
	buffer_load_dword v5, off, s[0:3], s4   ; 4-byte Folded Reload
	s_mov_b32 s4, 0x25500
	;; [unrolled: 10-line block ×5, first 2 shown]
	s_waitcnt vmcnt(0)
	v_fmac_f32_e32 v7, v2, v5
	buffer_load_dword v5, off, s[0:3], s4   ; 4-byte Folded Reload
	s_mov_b32 s4, 0x25800
	buffer_store_dword v7, off, s[0:3], 0 offset:3840 ; 4-byte Folded Spill
	s_waitcnt vmcnt(0)
	v_fmac_f32_e32 v8, v2, v5
	buffer_load_dword v5, off, s[0:3], s4   ; 4-byte Folded Reload
	s_mov_b32 s4, 0x25780
	buffer_store_dword v8, off, s[0:3], 0 offset:3844 ; 4-byte Folded Spill
	;; [unrolled: 5-line block ×5, first 2 shown]
	buffer_load_dword v6, off, s[0:3], s4   ; 4-byte Folded Reload
	s_mov_b32 s4, 0x25b00
	s_waitcnt vmcnt(0)
	v_fma_f32 v7, v0, v6, v5
	buffer_load_dword v5, off, s[0:3], s4   ; 4-byte Folded Reload
	s_mov_b32 s4, 0x25c80
	s_waitcnt vmcnt(0)
	v_fmac_f32_e32 v7, v1, v5
	buffer_load_dword v5, off, s[0:3], s4   ; 4-byte Folded Reload
	s_mov_b32 s4, 0x25d00
	buffer_load_dword v6, off, s[0:3], s4   ; 4-byte Folded Reload
	s_mov_b32 s4, 0x25d80
	s_waitcnt vmcnt(0)
	v_fma_f32 v8, v0, v6, v5
	buffer_load_dword v5, off, s[0:3], s4   ; 4-byte Folded Reload
	s_mov_b32 s4, 0x25e00
	s_waitcnt vmcnt(0)
	v_fmac_f32_e32 v8, v1, v5
	buffer_load_dword v5, off, s[0:3], s4   ; 4-byte Folded Reload
	s_mov_b32 s4, 0x25e80
	;; [unrolled: 10-line block ×5, first 2 shown]
	s_waitcnt vmcnt(0)
	v_fmac_f32_e32 v7, v2, v5
	buffer_load_dword v5, off, s[0:3], s4   ; 4-byte Folded Reload
	s_mov_b32 s4, 0x25f80
	buffer_store_dword v7, off, s[0:3], 0 offset:3860 ; 4-byte Folded Spill
	s_waitcnt vmcnt(0)
	v_fmac_f32_e32 v8, v2, v5
	buffer_load_dword v5, off, s[0:3], s4   ; 4-byte Folded Reload
	s_mov_b32 s4, 0x26400
	buffer_store_dword v8, off, s[0:3], 0 offset:3864 ; 4-byte Folded Spill
	;; [unrolled: 5-line block ×5, first 2 shown]
	buffer_load_dword v6, off, s[0:3], s4   ; 4-byte Folded Reload
	s_mov_b32 s4, 0x26580
	s_waitcnt vmcnt(0)
	v_fma_f32 v7, v0, v6, v5
	buffer_load_dword v5, off, s[0:3], s4   ; 4-byte Folded Reload
	s_mov_b32 s4, 0x26600
	s_waitcnt vmcnt(0)
	v_fmac_f32_e32 v7, v1, v5
	buffer_load_dword v5, off, s[0:3], s4   ; 4-byte Folded Reload
	s_mov_b32 s4, 0x26680
	buffer_load_dword v6, off, s[0:3], s4   ; 4-byte Folded Reload
	s_mov_b32 s4, 0x26700
	s_waitcnt vmcnt(0)
	v_fma_f32 v8, v0, v6, v5
	buffer_load_dword v5, off, s[0:3], s4   ; 4-byte Folded Reload
	s_mov_b32 s4, 0x26880
	s_waitcnt vmcnt(0)
	v_fmac_f32_e32 v8, v1, v5
	buffer_load_dword v5, off, s[0:3], s4   ; 4-byte Folded Reload
	s_mov_b32 s4, 0x26900
	;; [unrolled: 10-line block ×5, first 2 shown]
	s_waitcnt vmcnt(0)
	v_fmac_f32_e32 v7, v2, v5
	buffer_load_dword v5, off, s[0:3], s4   ; 4-byte Folded Reload
	s_mov_b32 s4, 0x26c00
	buffer_store_dword v7, off, s[0:3], 0 offset:3880 ; 4-byte Folded Spill
	s_waitcnt vmcnt(0)
	v_fmac_f32_e32 v8, v2, v5
	buffer_load_dword v5, off, s[0:3], s4   ; 4-byte Folded Reload
	s_mov_b32 s4, 0x26b80
	buffer_store_dword v8, off, s[0:3], 0 offset:3884 ; 4-byte Folded Spill
	s_waitcnt vmcnt(0)
	v_fmac_f32_e32 v9, v2, v5
	buffer_load_dword v5, off, s[0:3], s4   ; 4-byte Folded Reload
	s_mov_b32 s4, 0x27000
	buffer_store_dword v9, off, s[0:3], 0 offset:3888 ; 4-byte Folded Spill
	s_waitcnt vmcnt(0)
	v_fmac_f32_e32 v10, v2, v5
	buffer_load_dword v5, off, s[0:3], s4   ; 4-byte Folded Reload
	s_mov_b32 s4, 0x26e00
	buffer_store_dword v10, off, s[0:3], 0 offset:3892 ; 4-byte Folded Spill
	s_waitcnt vmcnt(0)
	v_fmac_f32_e32 v6, v2, v5
	buffer_load_dword v5, off, s[0:3], s4   ; 4-byte Folded Reload
	s_mov_b32 s4, 0x26e80
	buffer_store_dword v6, off, s[0:3], 0 offset:3896 ; 4-byte Folded Spill
	buffer_load_dword v6, off, s[0:3], s4   ; 4-byte Folded Reload
	s_mov_b32 s4, 0x26f00
	s_waitcnt vmcnt(0)
	v_fma_f32 v7, v0, v6, v5
	buffer_load_dword v5, off, s[0:3], s4   ; 4-byte Folded Reload
	s_mov_b32 s4, 0x27080
	s_waitcnt vmcnt(0)
	v_fmac_f32_e32 v7, v1, v5
	buffer_load_dword v5, off, s[0:3], s4   ; 4-byte Folded Reload
	s_mov_b32 s4, 0x27100
	buffer_load_dword v6, off, s[0:3], s4   ; 4-byte Folded Reload
	s_mov_b32 s4, 0x27180
	s_waitcnt vmcnt(0)
	v_fma_f32 v8, v0, v6, v5
	buffer_load_dword v5, off, s[0:3], s4   ; 4-byte Folded Reload
	s_mov_b32 s4, 0x27200
	s_waitcnt vmcnt(0)
	v_fmac_f32_e32 v8, v1, v5
	buffer_load_dword v5, off, s[0:3], s4   ; 4-byte Folded Reload
	s_mov_b32 s4, 0x27280
	;; [unrolled: 10-line block ×5, first 2 shown]
	s_waitcnt vmcnt(0)
	v_fmac_f32_e32 v7, v2, v5
	buffer_load_dword v5, off, s[0:3], s4   ; 4-byte Folded Reload
	s_mov_b32 s4, 0x27380
	buffer_store_dword v7, off, s[0:3], 0 offset:3900 ; 4-byte Folded Spill
	s_waitcnt vmcnt(0)
	v_fmac_f32_e32 v8, v2, v5
	buffer_load_dword v5, off, s[0:3], s4   ; 4-byte Folded Reload
	s_mov_b32 s4, 0x27800
	buffer_store_dword v8, off, s[0:3], 0 offset:3904 ; 4-byte Folded Spill
	;; [unrolled: 5-line block ×5, first 2 shown]
	buffer_load_dword v6, off, s[0:3], s4   ; 4-byte Folded Reload
	s_mov_b32 s4, 0x27980
	s_waitcnt vmcnt(0)
	v_fma_f32 v7, v0, v6, v5
	buffer_load_dword v5, off, s[0:3], s4   ; 4-byte Folded Reload
	s_mov_b32 s4, 0x27a00
	s_waitcnt vmcnt(0)
	v_fmac_f32_e32 v7, v1, v5
	buffer_load_dword v5, off, s[0:3], s4   ; 4-byte Folded Reload
	s_mov_b32 s4, 0x27a80
	buffer_load_dword v6, off, s[0:3], s4   ; 4-byte Folded Reload
	s_mov_b32 s4, 0x27b00
	s_waitcnt vmcnt(0)
	v_fma_f32 v8, v0, v6, v5
	buffer_load_dword v5, off, s[0:3], s4   ; 4-byte Folded Reload
	s_mov_b32 s4, 0x27c80
	s_waitcnt vmcnt(0)
	v_fmac_f32_e32 v8, v1, v5
	buffer_load_dword v5, off, s[0:3], s4   ; 4-byte Folded Reload
	s_mov_b32 s4, 0x27d00
	buffer_load_dword v6, off, s[0:3], s4   ; 4-byte Folded Reload
	s_mov_b32 s4, 0x27d80
	s_waitcnt vmcnt(0)
	v_fma_f32 v9, v0, v6, v5
	buffer_load_dword v5, off, s[0:3], s4   ; 4-byte Folded Reload
	s_mov_b32 s4, 0x27e00
	s_waitcnt vmcnt(0)
	v_fmac_f32_e32 v9, v1, v5
	buffer_load_dword v5, off, s[0:3], s4   ; 4-byte Folded Reload
	s_mov_b32 s4, 0x27e80
	buffer_load_dword v6, off, s[0:3], s4   ; 4-byte Folded Reload
	s_mov_b32 s4, 0x27f00
	s_waitcnt vmcnt(0)
	v_fma_f32 v10, v0, v6, v5
	buffer_load_dword v5, off, s[0:3], s4   ; 4-byte Folded Reload
	s_mov_b32 s4, 0x28080
	s_waitcnt vmcnt(0)
	v_fmac_f32_e32 v10, v1, v5
	buffer_load_dword v5, off, s[0:3], s4   ; 4-byte Folded Reload
	s_mov_b32 s4, 0x28100
	buffer_load_dword v6, off, s[0:3], s4   ; 4-byte Folded Reload
	s_mov_b32 s4, 0x28180
	s_waitcnt vmcnt(0)
	v_fma_f32 v5, v0, v6, v5
	buffer_load_dword v0, off, s[0:3], s4   ; 4-byte Folded Reload
	s_mov_b32 s4, 0x27c00
	s_waitcnt vmcnt(0)
	v_fmac_f32_e32 v5, v1, v0
	buffer_load_dword v0, off, s[0:3], s4   ; 4-byte Folded Reload
	s_mov_b32 s4, 0x27b80
	s_waitcnt vmcnt(0)
	v_fmac_f32_e32 v7, v2, v0
	buffer_load_dword v0, off, s[0:3], s4   ; 4-byte Folded Reload
	s_mov_b32 s4, 0x28000
	buffer_store_dword v7, off, s[0:3], 0 offset:3920 ; 4-byte Folded Spill
	s_waitcnt vmcnt(0)
	v_fmac_f32_e32 v8, v2, v0
	buffer_load_dword v0, off, s[0:3], s4   ; 4-byte Folded Reload
	s_mov_b32 s4, 0x27f80
	buffer_store_dword v8, off, s[0:3], 0 offset:3924 ; 4-byte Folded Spill
	;; [unrolled: 5-line block ×3, first 2 shown]
	s_waitcnt vmcnt(0)
	v_fmac_f32_e32 v10, v2, v0
	buffer_load_dword v0, off, s[0:3], s4   ; 4-byte Folded Reload
	buffer_store_dword v10, off, s[0:3], 0 offset:3932 ; 4-byte Folded Spill
	s_waitcnt vmcnt(0)
	v_fmac_f32_e32 v5, v2, v0
	v_lshlrev_b64 v[0:1], 4, v[3:4]
	buffer_store_dword v5, off, s[0:3], 0 offset:3936 ; 4-byte Folded Spill
	v_add_co_u32 v0, vcc_lo, s18, v0
	v_add_co_ci_u32_e64 v1, null, s19, v1, vcc_lo
	global_load_dwordx4 v[0:3], v[0:1], off
	s_waitcnt vmcnt(0)
	v_cmp_eq_u32_e64 s7, 0x46, v0
	v_cmp_eq_u32_e64 s8, 0x45, v0
	s_clause 0x3e
	buffer_load_dword v83, off, s[0:3], 0 offset:16
	buffer_load_dword v82, off, s[0:3], 0 offset:20
	buffer_load_dword v79, off, s[0:3], 0 offset:24
	buffer_load_dword v78, off, s[0:3], 0 offset:28
	buffer_load_dword v77, off, s[0:3], 0 offset:32
	buffer_load_dword v76, off, s[0:3], 0 offset:36
	buffer_load_dword v75, off, s[0:3], 0 offset:40
	buffer_load_dword v74, off, s[0:3], 0 offset:44
	buffer_load_dword v73, off, s[0:3], 0 offset:48
	buffer_load_dword v72, off, s[0:3], 0 offset:52
	buffer_load_dword v71, off, s[0:3], 0 offset:56
	buffer_load_dword v8, off, s[0:3], 0 offset:60
	buffer_load_dword v70, off, s[0:3], 0 offset:64
	buffer_load_dword v69, off, s[0:3], 0 offset:68
	buffer_load_dword v68, off, s[0:3], 0 offset:72
	buffer_load_dword v67, off, s[0:3], 0 offset:76
	buffer_load_dword v66, off, s[0:3], 0 offset:80
	buffer_load_dword v65, off, s[0:3], 0 offset:84
	buffer_load_dword v64, off, s[0:3], 0 offset:88
	buffer_load_dword v63, off, s[0:3], 0 offset:92
	buffer_load_dword v0, off, s[0:3], 0 offset:96
	buffer_load_dword v106, off, s[0:3], 0 offset:100
	buffer_load_dword v105, off, s[0:3], 0 offset:104
	buffer_load_dword v104, off, s[0:3], 0 offset:108
	buffer_load_dword v103, off, s[0:3], 0 offset:112
	buffer_load_dword v102, off, s[0:3], 0 offset:116
	buffer_load_dword v16, off, s[0:3], 0 offset:120
	buffer_load_dword v101, off, s[0:3], 0 offset:124
	buffer_load_dword v100, off, s[0:3], 0 offset:128
	buffer_load_dword v15, off, s[0:3], 0 offset:132
	buffer_load_dword v99, off, s[0:3], 0 offset:136
	buffer_load_dword v22, off, s[0:3], 0 offset:140
	buffer_load_dword v21, off, s[0:3], 0 offset:144
	buffer_load_dword v98, off, s[0:3], 0 offset:148
	buffer_load_dword v97, off, s[0:3], 0 offset:152
	buffer_load_dword v96, off, s[0:3], 0 offset:156
	buffer_load_dword v95, off, s[0:3], 0 offset:160
	buffer_load_dword v94, off, s[0:3], 0 offset:164
	buffer_load_dword v20, off, s[0:3], 0 offset:168
	buffer_load_dword v93, off, s[0:3], 0 offset:172
	buffer_load_dword v92, off, s[0:3], 0 offset:176
	buffer_load_dword v91, off, s[0:3], 0 offset:180
	buffer_load_dword v90, off, s[0:3], 0 offset:184
	buffer_load_dword v89, off, s[0:3], 0 offset:188
	buffer_load_dword v14, off, s[0:3], 0 offset:192
	buffer_load_dword v13, off, s[0:3], 0 offset:196
	buffer_load_dword v12, off, s[0:3], 0 offset:200
	buffer_load_dword v11, off, s[0:3], 0 offset:204
	buffer_load_dword v10, off, s[0:3], 0 offset:208
	buffer_load_dword v9, off, s[0:3], 0 offset:212
	buffer_load_dword v127, off, s[0:3], 0 offset:216
	buffer_load_dword v126, off, s[0:3], 0 offset:220
	buffer_load_dword v125, off, s[0:3], 0 offset:224
	buffer_load_dword v124, off, s[0:3], 0 offset:228
	buffer_load_dword v19, off, s[0:3], 0 offset:232
	buffer_load_dword v123, off, s[0:3], 0 offset:236
	buffer_load_dword v122, off, s[0:3], 0 offset:240
	buffer_load_dword v121, off, s[0:3], 0 offset:244
	buffer_load_dword v120, off, s[0:3], 0 offset:248
	buffer_load_dword v119, off, s[0:3], 0 offset:252
	buffer_load_dword v118, off, s[0:3], 0 offset:256
	buffer_load_dword v117, off, s[0:3], 0 offset:260
	buffer_load_dword v116, off, s[0:3], 0 offset:264
	buffer_load_dword v115, off, s[0:3], 0 offset:268
	v_cmp_gt_f32_e64 s4, 0, v2
	v_cmp_lt_f32_e64 s5, 0, v2
.LBB6_28:                               ;   Parent Loop BB6_27 Depth=1
                                        ; =>  This Inner Loop Header: Depth=2
	global_load_dwordx4 v[4:7], v37, s[22:23] offset:-8
	v_cndmask_b32_e64 v110, 0xff7fffff, 1.0, s4
	v_mov_b32_e32 v37, 0
	buffer_load_dword v28, off, s[0:3], 0 offset:3648 ; 4-byte Folded Reload
	s_waitcnt vmcnt(1)
	v_ashrrev_i32_e32 v24, 31, v7
	v_mov_b32_e32 v23, v7
	v_lshlrev_b64 v[23:24], 4, v[23:24]
	v_add_co_u32 v23, vcc_lo, s18, v23
	v_add_co_ci_u32_e64 v24, null, s19, v24, vcc_lo
	global_load_dwordx4 v[111:114], v[23:24], off
	s_waitcnt vmcnt(0)
	v_add_f32_e32 v108, v1, v112
	v_cmp_lt_f32_e64 s10, 0, v113
	v_div_scale_f32 v7, null, v108, v108, 1.0
	s_and_b32 s10, s10, s4
	v_rcp_f32_e32 v17, v7
	v_fma_f32 v23, -v7, v17, 1.0
	v_fmac_f32_e32 v17, v23, v17
	v_div_scale_f32 v23, vcc_lo, 1.0, v108, 1.0
	v_mul_f32_e32 v24, v23, v17
	v_fma_f32 v107, -v7, v24, v23
	v_fmac_f32_e32 v24, v107, v17
	v_fma_f32 v7, -v7, v24, v23
	v_cndmask_b32_e64 v23, v2, -v2, s10
	v_div_fmas_f32 v7, v7, v17, v24
	v_cmp_eq_u32_e32 vcc_lo, 0x46, v111
	v_div_fixup_f32 v109, v7, v108, 1.0
	s_and_b32 s9, vcc_lo, s7
	v_cmp_eq_u32_e32 vcc_lo, 0x45, v111
	v_cndmask_b32_e64 v7, 1.0, 0x40b00000, s4
	v_cndmask_b32_e64 v107, 2.0, 4.0, s9
	v_cndmask_b32_e64 v24, 0.5, 0x3e800000, s9
	v_cmp_neq_f32_e64 s9, 0, v113
	s_or_b32 s27, vcc_lo, s8
	v_cmp_gt_f32_e32 vcc_lo, 0, v113
	v_cndmask_b32_e32 v7, v110, v7, vcc_lo
	s_and_b32 s28, vcc_lo, s5
	v_cndmask_b32_e64 v17, v113, -v113, s28
	v_div_scale_f32 v110, null, v7, v7, 1.0
	v_add_f32_e32 v23, v17, v23
	buffer_load_dword v17, off, s[0:3], 0 offset:3640 ; 4-byte Folded Reload
	v_rcp_f32_e32 v111, v110
	v_fma_f32 v112, -v110, v111, 1.0
	v_fmac_f32_e32 v111, v112, v111
	v_div_scale_f32 v112, vcc_lo, 1.0, v7, 1.0
	v_mul_f32_e32 v113, v112, v111
	v_fma_f32 v18, -v110, v113, v112
	v_fmac_f32_e32 v113, v18, v111
	v_fma_f32 v18, -v110, v113, v112
	v_sub_f32_e32 v112, v28, v6
	buffer_load_dword v28, off, s[0:3], 0 offset:3660 ; 4-byte Folded Reload
	v_div_fmas_f32 v18, v18, v111, v113
	v_mul_f32_e32 v111, v3, v114
	v_div_fixup_f32 v110, v18, v7, 1.0
	buffer_load_dword v18, off, s[0:3], 0 offset:3644 ; 4-byte Folded Reload
	s_waitcnt vmcnt(2)
	v_sub_f32_e32 v17, v17, v4
	s_waitcnt vmcnt(0)
	v_sub_f32_e32 v18, v18, v5
	v_mul_f32_e32 v18, v18, v18
	v_fmac_f32_e32 v18, v17, v17
	v_fmac_f32_e32 v18, v112, v112
	v_cmp_gt_f32_e32 vcc_lo, 0xf800000, v18
	v_mul_f32_e32 v17, 0x4f800000, v18
	v_cndmask_b32_e32 v17, v18, v17, vcc_lo
	v_sqrt_f32_e32 v18, v17
	v_add_nc_u32_e32 v112, -1, v18
	v_fma_f32 v113, -v112, v18, v17
	v_cmp_ge_f32_e64 s10, 0, v113
	v_add_nc_u32_e32 v113, 1, v18
	v_cndmask_b32_e64 v112, v18, v112, s10
	v_fma_f32 v18, -v113, v18, v17
	v_cmp_lt_f32_e64 s10, 0, v18
	v_cndmask_b32_e64 v18, v112, v113, s10
	v_mul_f32_e32 v112, 0x37800000, v18
	v_cndmask_b32_e32 v18, v18, v112, vcc_lo
	v_cmp_class_f32_e64 vcc_lo, v17, 0x260
	v_cndmask_b32_e32 v17, v18, v17, vcc_lo
	v_sub_f32_e32 v18, v17, v108
	v_fma_f32 v17, -v109, v17, 1.0
	v_cmp_gt_f32_e32 vcc_lo, 0, v18
	v_cmp_lt_f32_e64 s10, v18, v107
	v_cndmask_b32_e64 v112, 0, 0x42980000, vcc_lo
	v_fmac_f32_e32 v83, v17, v112
	v_fma_f32 v17, -v24, v18, 1.0
	v_cndmask_b32_e64 v112, 0, 1.0, s10
	v_cmp_lt_f32_e64 s10, v18, v7
	v_cndmask_b32_e64 v17, v17, 1.0, vcc_lo
	s_and_b32 s10, s9, s10
	v_mul_f32_e32 v17, v112, v17
	v_sub_f32_e32 v112, v28, v6
	buffer_load_dword v28, off, s[0:3], 0 offset:3672 ; 4-byte Folded Reload
	v_mul_f32_e32 v17, v111, v17
	v_cndmask_b32_e64 v17, v17, -|v17|, s27
	v_fmac_f32_e32 v83, 0x42340000, v17
	v_fma_f32 v17, -v110, v18, 1.0
	v_cndmask_b32_e64 v18, 0, 1.0, s10
	v_cndmask_b32_e64 v17, v17, 1.0, vcc_lo
	v_mul_f32_e32 v18, v23, v18
	v_fmac_f32_e32 v83, v17, v18
	s_clause 0x1
	buffer_load_dword v17, off, s[0:3], 0 offset:3652
	buffer_load_dword v18, off, s[0:3], 0 offset:3656
	s_waitcnt vmcnt(1)
	v_sub_f32_e32 v17, v17, v4
	s_waitcnt vmcnt(0)
	v_sub_f32_e32 v18, v18, v5
	v_mul_f32_e32 v18, v18, v18
	v_fmac_f32_e32 v18, v17, v17
	v_fmac_f32_e32 v18, v112, v112
	v_cmp_gt_f32_e32 vcc_lo, 0xf800000, v18
	v_mul_f32_e32 v17, 0x4f800000, v18
	v_cndmask_b32_e32 v17, v18, v17, vcc_lo
	v_sqrt_f32_e32 v18, v17
	v_add_nc_u32_e32 v112, -1, v18
	v_fma_f32 v113, -v112, v18, v17
	v_cmp_ge_f32_e64 s10, 0, v113
	v_add_nc_u32_e32 v113, 1, v18
	v_cndmask_b32_e64 v112, v18, v112, s10
	v_fma_f32 v18, -v113, v18, v17
	v_cmp_lt_f32_e64 s10, 0, v18
	v_cndmask_b32_e64 v18, v112, v113, s10
	v_mul_f32_e32 v112, 0x37800000, v18
	v_cndmask_b32_e32 v18, v18, v112, vcc_lo
	v_cmp_class_f32_e64 vcc_lo, v17, 0x260
	v_cndmask_b32_e32 v17, v18, v17, vcc_lo
	v_sub_f32_e32 v18, v17, v108
	v_fma_f32 v17, -v109, v17, 1.0
	v_cmp_gt_f32_e32 vcc_lo, 0, v18
	v_cmp_lt_f32_e64 s10, v18, v107
	v_cndmask_b32_e64 v112, 0, 0x42980000, vcc_lo
	v_fmac_f32_e32 v82, v17, v112
	v_fma_f32 v17, -v24, v18, 1.0
	v_cndmask_b32_e64 v112, 0, 1.0, s10
	v_cmp_lt_f32_e64 s10, v18, v7
	v_cndmask_b32_e64 v17, v17, 1.0, vcc_lo
	s_and_b32 s10, s9, s10
	v_mul_f32_e32 v17, v112, v17
	v_sub_f32_e32 v112, v28, v6
	buffer_load_dword v28, off, s[0:3], 0 offset:3684 ; 4-byte Folded Reload
	v_mul_f32_e32 v17, v111, v17
	v_cndmask_b32_e64 v17, v17, -|v17|, s27
	v_fmac_f32_e32 v82, 0x42340000, v17
	v_fma_f32 v17, -v110, v18, 1.0
	v_cndmask_b32_e64 v18, 0, 1.0, s10
	v_cndmask_b32_e64 v17, v17, 1.0, vcc_lo
	v_mul_f32_e32 v18, v23, v18
	v_fmac_f32_e32 v82, v17, v18
	s_clause 0x1
	buffer_load_dword v17, off, s[0:3], 0 offset:3664
	buffer_load_dword v18, off, s[0:3], 0 offset:3668
	;; [unrolled: 48-line block ×24, first 2 shown]
	s_waitcnt vmcnt(1)
	v_sub_f32_e32 v17, v17, v4
	s_waitcnt vmcnt(0)
	v_sub_f32_e32 v18, v18, v5
	v_mul_f32_e32 v18, v18, v18
	v_fmac_f32_e32 v18, v17, v17
	v_fmac_f32_e32 v18, v112, v112
	v_cmp_gt_f32_e32 vcc_lo, 0xf800000, v18
	v_mul_f32_e32 v17, 0x4f800000, v18
	v_cndmask_b32_e32 v17, v18, v17, vcc_lo
	v_sqrt_f32_e32 v18, v17
	v_add_nc_u32_e32 v112, -1, v18
	v_fma_f32 v113, -v112, v18, v17
	v_cmp_ge_f32_e64 s10, 0, v113
	v_add_nc_u32_e32 v113, 1, v18
	v_cndmask_b32_e64 v112, v18, v112, s10
	v_fma_f32 v18, -v113, v18, v17
	v_cmp_lt_f32_e64 s10, 0, v18
	v_cndmask_b32_e64 v18, v112, v113, s10
	v_mul_f32_e32 v112, 0x37800000, v18
	v_cndmask_b32_e32 v18, v18, v112, vcc_lo
	v_cmp_class_f32_e64 vcc_lo, v17, 0x260
	v_cndmask_b32_e32 v17, v18, v17, vcc_lo
	v_sub_f32_e32 v18, v17, v108
	v_fma_f32 v17, -v109, v17, 1.0
	v_cmp_gt_f32_e32 vcc_lo, 0, v18
	v_cmp_lt_f32_e64 s10, v18, v107
	v_cndmask_b32_e64 v112, 0, 0x42980000, vcc_lo
	v_fmac_f32_e32 v103, v17, v112
	v_fma_f32 v17, -v24, v18, 1.0
	v_cndmask_b32_e64 v112, 0, 1.0, s10
	v_cmp_lt_f32_e64 s10, v18, v7
	v_cndmask_b32_e64 v17, v17, 1.0, vcc_lo
	s_and_b32 s10, s9, s10
	v_mul_f32_e32 v17, v112, v17
	buffer_load_dword v112, off, s[0:3], 0 offset:3352 ; 4-byte Folded Reload
	v_mul_f32_e32 v17, v111, v17
	v_cndmask_b32_e64 v17, v17, -|v17|, s27
	v_fmac_f32_e32 v103, 0x42340000, v17
	v_fma_f32 v17, -v110, v18, 1.0
	v_cndmask_b32_e64 v18, 0, 1.0, s10
	v_cndmask_b32_e64 v17, v17, 1.0, vcc_lo
	v_mul_f32_e32 v18, v23, v18
	v_fmac_f32_e32 v103, v17, v18
	s_clause 0x1
	buffer_load_dword v17, off, s[0:3], 0 offset:3344
	buffer_load_dword v18, off, s[0:3], 0 offset:3348
	s_waitcnt vmcnt(2)
	v_sub_f32_e32 v112, v112, v6
	s_waitcnt vmcnt(1)
	v_sub_f32_e32 v17, v17, v4
	s_waitcnt vmcnt(0)
	v_sub_f32_e32 v18, v18, v5
	v_mul_f32_e32 v18, v18, v18
	v_fmac_f32_e32 v18, v17, v17
	v_fmac_f32_e32 v18, v112, v112
	v_cmp_gt_f32_e32 vcc_lo, 0xf800000, v18
	v_mul_f32_e32 v17, 0x4f800000, v18
	v_cndmask_b32_e32 v17, v18, v17, vcc_lo
	v_sqrt_f32_e32 v18, v17
	v_add_nc_u32_e32 v112, -1, v18
	v_fma_f32 v113, -v112, v18, v17
	v_cmp_ge_f32_e64 s10, 0, v113
	v_add_nc_u32_e32 v113, 1, v18
	v_cndmask_b32_e64 v112, v18, v112, s10
	v_fma_f32 v18, -v113, v18, v17
	v_cmp_lt_f32_e64 s10, 0, v18
	v_cndmask_b32_e64 v18, v112, v113, s10
	v_mul_f32_e32 v112, 0x37800000, v18
	v_cndmask_b32_e32 v18, v18, v112, vcc_lo
	v_cmp_class_f32_e64 vcc_lo, v17, 0x260
	v_cndmask_b32_e32 v17, v18, v17, vcc_lo
	v_sub_f32_e32 v18, v17, v108
	v_fma_f32 v17, -v109, v17, 1.0
	v_cmp_gt_f32_e32 vcc_lo, 0, v18
	v_cmp_lt_f32_e64 s10, v18, v107
	v_cndmask_b32_e64 v112, 0, 0x42980000, vcc_lo
	v_fmac_f32_e32 v102, v17, v112
	v_fma_f32 v17, -v24, v18, 1.0
	v_cndmask_b32_e64 v112, 0, 1.0, s10
	v_cmp_lt_f32_e64 s10, v18, v7
	v_cndmask_b32_e64 v17, v17, 1.0, vcc_lo
	s_and_b32 s10, s9, s10
	v_mul_f32_e32 v17, v112, v17
	buffer_load_dword v112, off, s[0:3], 0 offset:3364 ; 4-byte Folded Reload
	v_mul_f32_e32 v17, v111, v17
	v_cndmask_b32_e64 v17, v17, -|v17|, s27
	v_fmac_f32_e32 v102, 0x42340000, v17
	v_fma_f32 v17, -v110, v18, 1.0
	v_cndmask_b32_e64 v18, 0, 1.0, s10
	v_cndmask_b32_e64 v17, v17, 1.0, vcc_lo
	v_mul_f32_e32 v18, v23, v18
	v_fmac_f32_e32 v102, v17, v18
	s_clause 0x1
	buffer_load_dword v17, off, s[0:3], 0 offset:3356
	buffer_load_dword v18, off, s[0:3], 0 offset:3360
	s_waitcnt vmcnt(2)
	v_sub_f32_e32 v112, v112, v6
	;; [unrolled: 49-line block ×13, first 2 shown]
	s_waitcnt vmcnt(1)
	v_sub_f32_e32 v17, v17, v4
	s_waitcnt vmcnt(0)
	v_sub_f32_e32 v18, v18, v5
	v_mul_f32_e32 v18, v18, v18
	v_fmac_f32_e32 v18, v17, v17
	v_fmac_f32_e32 v18, v112, v112
	v_cmp_gt_f32_e32 vcc_lo, 0xf800000, v18
	v_mul_f32_e32 v17, 0x4f800000, v18
	v_cndmask_b32_e32 v17, v18, v17, vcc_lo
	v_sqrt_f32_e32 v18, v17
	v_add_nc_u32_e32 v112, -1, v18
	v_fma_f32 v113, -v112, v18, v17
	v_cmp_ge_f32_e64 s10, 0, v113
	v_add_nc_u32_e32 v113, 1, v18
	v_cndmask_b32_e64 v112, v18, v112, s10
	v_fma_f32 v18, -v113, v18, v17
	v_cmp_lt_f32_e64 s10, 0, v18
	v_cndmask_b32_e64 v18, v112, v113, s10
	v_mul_f32_e32 v112, 0x37800000, v18
	v_cndmask_b32_e32 v18, v18, v112, vcc_lo
	v_cmp_class_f32_e64 vcc_lo, v17, 0x260
	v_cndmask_b32_e32 v17, v18, v17, vcc_lo
	v_sub_f32_e32 v18, v17, v108
	v_fma_f32 v17, -v109, v17, 1.0
	v_cmp_gt_f32_e32 vcc_lo, 0, v18
	v_cmp_lt_f32_e64 s10, v18, v107
	v_cndmask_b32_e64 v112, 0, 0x42980000, vcc_lo
	v_fmac_f32_e32 v94, v17, v112
	v_fma_f32 v17, -v24, v18, 1.0
	v_cndmask_b32_e64 v112, 0, 1.0, s10
	v_cmp_lt_f32_e64 s10, v18, v7
	v_cndmask_b32_e64 v17, v17, 1.0, vcc_lo
	s_and_b32 s10, s9, s10
	v_mul_f32_e32 v17, v112, v17
	v_sub_f32_e32 v112, v28, v6
	buffer_load_dword v28, off, s[0:3], 0 offset:3520 ; 4-byte Folded Reload
	v_mul_f32_e32 v17, v111, v17
	v_cndmask_b32_e64 v17, v17, -|v17|, s27
	v_fmac_f32_e32 v94, 0x42340000, v17
	v_fma_f32 v17, -v110, v18, 1.0
	v_cndmask_b32_e64 v18, 0, 1.0, s10
	v_cndmask_b32_e64 v17, v17, 1.0, vcc_lo
	v_mul_f32_e32 v18, v23, v18
	v_fmac_f32_e32 v94, v17, v18
	s_clause 0x1
	buffer_load_dword v17, off, s[0:3], 0 offset:3500
	buffer_load_dword v18, off, s[0:3], 0 offset:3504
	s_waitcnt vmcnt(1)
	v_sub_f32_e32 v17, v17, v4
	s_waitcnt vmcnt(0)
	v_sub_f32_e32 v18, v18, v5
	v_mul_f32_e32 v18, v18, v18
	v_fmac_f32_e32 v18, v17, v17
	v_fmac_f32_e32 v18, v112, v112
	v_cmp_gt_f32_e32 vcc_lo, 0xf800000, v18
	v_mul_f32_e32 v17, 0x4f800000, v18
	v_cndmask_b32_e32 v17, v18, v17, vcc_lo
	v_sqrt_f32_e32 v18, v17
	v_add_nc_u32_e32 v112, -1, v18
	v_fma_f32 v113, -v112, v18, v17
	v_cmp_ge_f32_e64 s10, 0, v113
	v_add_nc_u32_e32 v113, 1, v18
	v_cndmask_b32_e64 v112, v18, v112, s10
	v_fma_f32 v18, -v113, v18, v17
	v_cmp_lt_f32_e64 s10, 0, v18
	v_cndmask_b32_e64 v18, v112, v113, s10
	v_mul_f32_e32 v112, 0x37800000, v18
	v_cndmask_b32_e32 v18, v18, v112, vcc_lo
	v_cmp_class_f32_e64 vcc_lo, v17, 0x260
	v_cndmask_b32_e32 v17, v18, v17, vcc_lo
	v_sub_f32_e32 v18, v17, v108
	v_fma_f32 v17, -v109, v17, 1.0
	v_cmp_gt_f32_e32 vcc_lo, 0, v18
	v_cmp_lt_f32_e64 s10, v18, v107
	v_cndmask_b32_e64 v112, 0, 0x42980000, vcc_lo
	v_fmac_f32_e32 v20, v17, v112
	v_fma_f32 v17, -v24, v18, 1.0
	v_cndmask_b32_e64 v112, 0, 1.0, s10
	v_cmp_lt_f32_e64 s10, v18, v7
	v_cndmask_b32_e64 v17, v17, 1.0, vcc_lo
	s_and_b32 s10, s9, s10
	v_mul_f32_e32 v17, v112, v17
	v_sub_f32_e32 v112, v28, v6
	buffer_load_dword v28, off, s[0:3], 0 offset:3532 ; 4-byte Folded Reload
	v_mul_f32_e32 v17, v111, v17
	v_cndmask_b32_e64 v17, v17, -|v17|, s27
	v_fmac_f32_e32 v20, 0x42340000, v17
	v_fma_f32 v17, -v110, v18, 1.0
	v_cndmask_b32_e64 v18, 0, 1.0, s10
	v_cndmask_b32_e64 v17, v17, 1.0, vcc_lo
	v_mul_f32_e32 v18, v23, v18
	v_fmac_f32_e32 v20, v17, v18
	s_clause 0x1
	buffer_load_dword v17, off, s[0:3], 0 offset:3512
	buffer_load_dword v18, off, s[0:3], 0 offset:3516
	;; [unrolled: 48-line block ×10, first 2 shown]
	s_waitcnt vmcnt(1)
	v_sub_f32_e32 v17, v17, v4
	s_waitcnt vmcnt(0)
	v_sub_f32_e32 v18, v18, v5
	v_mul_f32_e32 v18, v18, v18
	v_fmac_f32_e32 v18, v17, v17
	v_fmac_f32_e32 v18, v112, v112
	v_cmp_gt_f32_e32 vcc_lo, 0xf800000, v18
	v_mul_f32_e32 v17, 0x4f800000, v18
	v_cndmask_b32_e32 v17, v18, v17, vcc_lo
	v_sqrt_f32_e32 v18, v17
	v_add_nc_u32_e32 v112, -1, v18
	v_fma_f32 v113, -v112, v18, v17
	v_cmp_ge_f32_e64 s10, 0, v113
	v_add_nc_u32_e32 v113, 1, v18
	v_cndmask_b32_e64 v112, v18, v112, s10
	v_fma_f32 v18, -v113, v18, v17
	v_cmp_lt_f32_e64 s10, 0, v18
	v_cndmask_b32_e64 v18, v112, v113, s10
	v_mul_f32_e32 v112, 0x37800000, v18
	v_cndmask_b32_e32 v18, v18, v112, vcc_lo
	v_cmp_class_f32_e64 vcc_lo, v17, 0x260
	v_cndmask_b32_e32 v17, v18, v17, vcc_lo
	v_sub_f32_e32 v18, v17, v108
	v_fma_f32 v17, -v109, v17, 1.0
	v_cmp_gt_f32_e32 vcc_lo, 0, v18
	v_cmp_lt_f32_e64 s10, v18, v107
	v_cndmask_b32_e64 v112, 0, 0x42980000, vcc_lo
	v_fmac_f32_e32 v11, v17, v112
	v_fma_f32 v17, -v24, v18, 1.0
	v_cndmask_b32_e64 v112, 0, 1.0, s10
	v_cmp_lt_f32_e64 s10, v18, v7
	v_cndmask_b32_e64 v17, v17, 1.0, vcc_lo
	s_and_b32 s10, s9, s10
	v_mul_f32_e32 v17, v112, v17
	v_sub_f32_e32 v112, v28, v6
	v_mul_f32_e32 v17, v111, v17
	v_cndmask_b32_e64 v17, v17, -|v17|, s27
	v_fmac_f32_e32 v11, 0x42340000, v17
	v_fma_f32 v17, -v110, v18, 1.0
	v_cndmask_b32_e64 v18, 0, 1.0, s10
	v_cndmask_b32_e64 v17, v17, 1.0, vcc_lo
	v_mul_f32_e32 v18, v23, v18
	v_fmac_f32_e32 v11, v17, v18
	s_clause 0x1
	buffer_load_dword v17, off, s[0:3], 0 offset:3620
	buffer_load_dword v18, off, s[0:3], 0 offset:3624
	s_waitcnt vmcnt(1)
	v_sub_f32_e32 v17, v17, v4
	s_waitcnt vmcnt(0)
	v_sub_f32_e32 v18, v18, v5
	v_mul_f32_e32 v18, v18, v18
	v_fmac_f32_e32 v18, v17, v17
	v_fmac_f32_e32 v18, v112, v112
	v_cmp_gt_f32_e32 vcc_lo, 0xf800000, v18
	v_mul_f32_e32 v17, 0x4f800000, v18
	v_cndmask_b32_e32 v17, v18, v17, vcc_lo
	v_sqrt_f32_e32 v18, v17
	v_add_nc_u32_e32 v112, -1, v18
	v_fma_f32 v113, -v112, v18, v17
	v_cmp_ge_f32_e64 s10, 0, v113
	v_add_nc_u32_e32 v113, 1, v18
	v_cndmask_b32_e64 v112, v18, v112, s10
	v_fma_f32 v18, -v113, v18, v17
	v_cmp_lt_f32_e64 s10, 0, v18
	v_cndmask_b32_e64 v18, v112, v113, s10
	v_mul_f32_e32 v112, 0x37800000, v18
	v_cndmask_b32_e32 v18, v18, v112, vcc_lo
	v_cmp_class_f32_e64 vcc_lo, v17, 0x260
	v_cndmask_b32_e32 v17, v18, v17, vcc_lo
	v_sub_f32_e32 v18, v17, v108
	v_fma_f32 v17, -v109, v17, 1.0
	v_cmp_gt_f32_e32 vcc_lo, 0, v18
	v_cmp_lt_f32_e64 s10, v18, v107
	v_cndmask_b32_e64 v112, 0, 0x42980000, vcc_lo
	v_fmac_f32_e32 v10, v17, v112
	v_fma_f32 v17, -v24, v18, 1.0
	v_cndmask_b32_e64 v112, 0, 1.0, s10
	v_cmp_lt_f32_e64 s10, v18, v7
	v_cndmask_b32_e64 v17, v17, 1.0, vcc_lo
	s_and_b32 s10, s9, s10
	v_mul_f32_e32 v17, v112, v17
	v_sub_f32_e32 v112, v27, v6
	v_mul_f32_e32 v17, v111, v17
	v_cndmask_b32_e64 v17, v17, -|v17|, s27
	v_fmac_f32_e32 v10, 0x42340000, v17
	v_fma_f32 v17, -v110, v18, 1.0
	v_cndmask_b32_e64 v18, 0, 1.0, s10
	v_cndmask_b32_e64 v17, v17, 1.0, vcc_lo
	v_mul_f32_e32 v18, v23, v18
	v_fmac_f32_e32 v10, v17, v18
	s_clause 0x1
	buffer_load_dword v17, off, s[0:3], 0 offset:3632
	buffer_load_dword v18, off, s[0:3], 0 offset:3636
	s_waitcnt vmcnt(1)
	v_sub_f32_e32 v17, v17, v4
	s_waitcnt vmcnt(0)
	v_sub_f32_e32 v18, v18, v5
	v_mul_f32_e32 v18, v18, v18
	v_fmac_f32_e32 v18, v17, v17
	v_fmac_f32_e32 v18, v112, v112
	v_cmp_gt_f32_e32 vcc_lo, 0xf800000, v18
	v_mul_f32_e32 v17, 0x4f800000, v18
	v_cndmask_b32_e32 v17, v18, v17, vcc_lo
	v_sqrt_f32_e32 v18, v17
	v_add_nc_u32_e32 v112, -1, v18
	v_fma_f32 v113, -v112, v18, v17
	v_cmp_ge_f32_e64 s10, 0, v113
	v_add_nc_u32_e32 v113, 1, v18
	v_cndmask_b32_e64 v112, v18, v112, s10
	v_fma_f32 v18, -v113, v18, v17
	v_cmp_lt_f32_e64 s10, 0, v18
	v_cndmask_b32_e64 v18, v112, v113, s10
	v_mul_f32_e32 v112, 0x37800000, v18
	v_cndmask_b32_e32 v18, v18, v112, vcc_lo
	v_cmp_class_f32_e64 vcc_lo, v17, 0x260
	v_cndmask_b32_e32 v17, v18, v17, vcc_lo
	v_sub_f32_e32 v18, v17, v108
	v_fma_f32 v17, -v109, v17, 1.0
	v_cmp_gt_f32_e32 vcc_lo, 0, v18
	v_cmp_lt_f32_e64 s10, v18, v107
	v_cndmask_b32_e64 v112, 0, 0x42980000, vcc_lo
	v_fmac_f32_e32 v9, v17, v112
	v_fma_f32 v17, -v24, v18, 1.0
	v_cndmask_b32_e64 v112, 0, 1.0, s10
	v_cmp_lt_f32_e64 s10, v18, v7
	v_cndmask_b32_e64 v17, v17, 1.0, vcc_lo
	s_and_b32 s10, s9, s10
	v_mul_f32_e32 v17, v112, v17
	v_sub_f32_e32 v112, v30, v6
	v_mul_f32_e32 v17, v111, v17
	v_cndmask_b32_e64 v17, v17, -|v17|, s27
	v_fmac_f32_e32 v9, 0x42340000, v17
	v_fma_f32 v17, -v110, v18, 1.0
	v_cndmask_b32_e64 v18, 0, 1.0, s10
	v_cndmask_b32_e64 v17, v17, 1.0, vcc_lo
	v_mul_f32_e32 v18, v23, v18
	v_fmac_f32_e32 v9, v17, v18
	v_sub_f32_e32 v18, v26, v5
	v_sub_f32_e32 v17, v25, v4
	v_mul_f32_e32 v18, v18, v18
	v_fmac_f32_e32 v18, v17, v17
	v_fmac_f32_e32 v18, v112, v112
	v_cmp_gt_f32_e32 vcc_lo, 0xf800000, v18
	v_mul_f32_e32 v17, 0x4f800000, v18
	v_cndmask_b32_e32 v17, v18, v17, vcc_lo
	v_sqrt_f32_e32 v18, v17
	v_add_nc_u32_e32 v112, -1, v18
	v_fma_f32 v113, -v112, v18, v17
	v_cmp_ge_f32_e64 s10, 0, v113
	v_add_nc_u32_e32 v113, 1, v18
	v_cndmask_b32_e64 v112, v18, v112, s10
	v_fma_f32 v18, -v113, v18, v17
	v_cmp_lt_f32_e64 s10, 0, v18
	v_cndmask_b32_e64 v18, v112, v113, s10
	v_mul_f32_e32 v112, 0x37800000, v18
	v_cndmask_b32_e32 v18, v18, v112, vcc_lo
	v_cmp_class_f32_e64 vcc_lo, v17, 0x260
	v_cndmask_b32_e32 v17, v18, v17, vcc_lo
	v_sub_f32_e32 v18, v17, v108
	v_fma_f32 v17, -v109, v17, 1.0
	v_cmp_gt_f32_e32 vcc_lo, 0, v18
	v_cmp_lt_f32_e64 s10, v18, v107
	v_cndmask_b32_e64 v112, 0, 0x42980000, vcc_lo
	v_fmac_f32_e32 v127, v17, v112
	v_fma_f32 v17, -v24, v18, 1.0
	v_cndmask_b32_e64 v112, 0, 1.0, s10
	v_cmp_lt_f32_e64 s10, v18, v7
	v_cndmask_b32_e64 v17, v17, 1.0, vcc_lo
	s_and_b32 s10, s9, s10
	v_mul_f32_e32 v17, v112, v17
	v_sub_f32_e32 v112, v32, v6
	v_mul_f32_e32 v17, v111, v17
	v_cndmask_b32_e64 v17, v17, -|v17|, s27
	v_fmac_f32_e32 v127, 0x42340000, v17
	v_fma_f32 v17, -v110, v18, 1.0
	v_cndmask_b32_e64 v18, 0, 1.0, s10
	v_cndmask_b32_e64 v17, v17, 1.0, vcc_lo
	v_mul_f32_e32 v18, v23, v18
	v_fmac_f32_e32 v127, v17, v18
	v_sub_f32_e32 v18, v29, v5
	;; [unrolled: 42-line block ×13, first 2 shown]
	v_sub_f32_e32 v17, v81, v4
	v_sub_f32_e32 v4, v86, v4
	v_mul_f32_e32 v18, v18, v18
	v_fmac_f32_e32 v18, v17, v17
	v_fmac_f32_e32 v18, v112, v112
	v_cmp_gt_f32_e32 vcc_lo, 0xf800000, v18
	v_mul_f32_e32 v17, 0x4f800000, v18
	v_cndmask_b32_e32 v17, v18, v17, vcc_lo
	v_sqrt_f32_e32 v18, v17
	v_add_nc_u32_e32 v112, -1, v18
	v_fma_f32 v113, -v112, v18, v17
	v_cmp_ge_f32_e64 s10, 0, v113
	v_add_nc_u32_e32 v113, 1, v18
	v_cndmask_b32_e64 v112, v18, v112, s10
	v_fma_f32 v18, -v113, v18, v17
	v_cmp_lt_f32_e64 s10, 0, v18
	v_cndmask_b32_e64 v18, v112, v113, s10
	v_mul_f32_e32 v112, 0x37800000, v18
	v_cndmask_b32_e32 v18, v18, v112, vcc_lo
	v_cmp_class_f32_e64 vcc_lo, v17, 0x260
	v_cndmask_b32_e32 v17, v18, v17, vcc_lo
	v_sub_f32_e32 v18, v17, v108
	v_fma_f32 v17, -v109, v17, 1.0
	v_cmp_gt_f32_e32 vcc_lo, 0, v18
	v_cmp_lt_f32_e64 s10, v18, v107
	v_cndmask_b32_e64 v112, 0, 0x42980000, vcc_lo
	v_fmac_f32_e32 v116, v17, v112
	v_fma_f32 v17, -v24, v18, 1.0
	v_cndmask_b32_e64 v112, 0, 1.0, s10
	v_cmp_lt_f32_e64 s10, v18, v7
	v_cndmask_b32_e64 v17, v17, 1.0, vcc_lo
	s_and_b32 s10, s9, s10
	v_mul_f32_e32 v17, v112, v17
	v_mul_f32_e32 v17, v111, v17
	v_cndmask_b32_e64 v17, v17, -|v17|, s27
	v_fmac_f32_e32 v116, 0x42340000, v17
	v_fma_f32 v17, -v110, v18, 1.0
	v_cndmask_b32_e64 v18, 0, 1.0, s10
	v_cndmask_b32_e64 v17, v17, 1.0, vcc_lo
	v_mul_f32_e32 v18, v23, v18
	v_fmac_f32_e32 v116, v17, v18
	v_sub_f32_e32 v17, v87, v5
	v_sub_f32_e32 v5, v88, v6
	v_mul_f32_e32 v6, v17, v17
	v_fmac_f32_e32 v6, v4, v4
	v_fmac_f32_e32 v6, v5, v5
	v_cmp_gt_f32_e32 vcc_lo, 0xf800000, v6
	v_mul_f32_e32 v4, 0x4f800000, v6
	v_cndmask_b32_e32 v4, v6, v4, vcc_lo
	v_sqrt_f32_e32 v5, v4
	v_add_nc_u32_e32 v6, -1, v5
	v_fma_f32 v17, -v6, v5, v4
	v_cmp_ge_f32_e64 s10, 0, v17
	v_add_nc_u32_e32 v17, 1, v5
	v_cndmask_b32_e64 v6, v5, v6, s10
	v_fma_f32 v5, -v17, v5, v4
	v_cmp_lt_f32_e64 s10, 0, v5
	v_cndmask_b32_e64 v5, v6, v17, s10
	v_mul_f32_e32 v6, 0x37800000, v5
	v_cndmask_b32_e32 v5, v5, v6, vcc_lo
	v_cmp_class_f32_e64 vcc_lo, v4, 0x260
	v_cndmask_b32_e32 v4, v5, v4, vcc_lo
	v_sub_f32_e32 v5, v4, v108
	v_fma_f32 v4, -v109, v4, 1.0
	v_cmp_gt_f32_e32 vcc_lo, 0, v5
	v_cmp_lt_f32_e64 s10, v5, v107
	v_cndmask_b32_e64 v6, 0, 0x42980000, vcc_lo
	v_fmac_f32_e32 v115, v4, v6
	v_fma_f32 v4, -v24, v5, 1.0
	v_cndmask_b32_e64 v6, 0, 1.0, s10
	v_cmp_lt_f32_e64 s10, v5, v7
	v_cndmask_b32_e64 v4, v4, 1.0, vcc_lo
	s_and_b32 s9, s9, s10
	s_add_u32 s22, s22, 16
	s_addc_u32 s23, s23, 0
	v_mul_f32_e32 v4, v6, v4
	s_add_i32 s26, s26, -1
	s_cmp_lg_u32 s26, 0
	v_mul_f32_e32 v4, v111, v4
	v_cndmask_b32_e64 v4, v4, -|v4|, s27
	v_fmac_f32_e32 v115, 0x42340000, v4
	v_fma_f32 v4, -v110, v5, 1.0
	v_cndmask_b32_e64 v5, 0, 1.0, s9
	v_cndmask_b32_e64 v4, v4, 1.0, vcc_lo
	v_mul_f32_e32 v5, v23, v5
	v_fmac_f32_e32 v115, v4, v5
	s_cbranch_scc1 .LBB6_28
; %bb.29:                               ;   in Loop: Header=BB6_27 Depth=1
	s_add_i32 s20, s20, 1
	buffer_store_dword v83, off, s[0:3], 0 offset:16
	buffer_store_dword v82, off, s[0:3], 0 offset:20
	;; [unrolled: 1-line block ×61, first 2 shown]
	s_cmp_lg_u32 s20, s25
	buffer_store_dword v117, off, s[0:3], 0 offset:260
	buffer_store_dword v116, off, s[0:3], 0 offset:264
	;; [unrolled: 1-line block ×3, first 2 shown]
	s_cbranch_scc1 .LBB6_27
; %bb.30:
	s_and_saveexec_b32 s4, s6
	s_cbranch_execz .LBB6_32
; %bb.31:
	s_mov_b32 s4, 0x28280
	s_clause 0x13
	buffer_load_dword v1, off, s[0:3], 0 offset:100
	buffer_load_dword v2, off, s[0:3], 0 offset:104
	;; [unrolled: 1-line block ×16, first 2 shown]
	buffer_load_dword v80, off, s[0:3], s4
	buffer_load_dword v81, off, s[0:3], s4 offset:4
	buffer_load_dword v18, off, s[0:3], 0 offset:164
	;; [unrolled: 1-line block ×3, first 2 shown]
	v_mul_f32_e32 v49, 0.5, v8
	buffer_load_dword v8, off, s[0:3], 0 offset:168
	v_mul_f32_e32 v39, 0.5, v0
	s_clause 0x17
	buffer_load_dword v0, off, s[0:3], 0 offset:176
	buffer_load_dword v20, off, s[0:3], 0 offset:180
	;; [unrolled: 1-line block ×24, first 2 shown]
	s_waitcnt vmcnt(27)
	v_mov_b32_e32 v81, 0
	v_mul_f32_e32 v42, 0.5, v64
	v_mul_f32_e32 v43, 0.5, v63
	;; [unrolled: 1-line block ×33, first 2 shown]
	s_waitcnt vmcnt(23)
	v_mul_f32_e32 v0, 0.5, v0
	v_lshlrev_b64 v[63:64], 2, v[80:81]
	v_add_nc_u32_e32 v80, s11, v80
	v_lshlrev_b64 v[65:66], 2, v[80:81]
	v_add_nc_u32_e32 v80, s11, v80
	v_add_co_u32 v63, vcc_lo, s16, v63
	v_add_co_ci_u32_e64 v64, null, s17, v64, vcc_lo
	v_lshlrev_b64 v[67:68], 2, v[80:81]
	v_add_nc_u32_e32 v80, s11, v80
	v_add_co_u32 v65, vcc_lo, s16, v65
	v_add_co_ci_u32_e64 v66, null, s17, v66, vcc_lo
	;; [unrolled: 4-line block ×3, first 2 shown]
	global_store_dword v[63:64], v59, off
	global_store_dword v[65:66], v62, off
	v_lshlrev_b64 v[62:63], 2, v[80:81]
	v_add_nc_u32_e32 v80, s11, v80
	global_store_dword v[67:68], v79, off
	v_add_co_u32 v64, vcc_lo, s16, v69
	v_add_co_ci_u32_e64 v65, null, s17, v70, vcc_lo
	v_lshlrev_b64 v[66:67], 2, v[80:81]
	v_add_nc_u32_e32 v80, s11, v80
	v_add_co_u32 v62, vcc_lo, s16, v62
	v_add_co_ci_u32_e64 v63, null, s17, v63, vcc_lo
	v_lshlrev_b64 v[68:69], 2, v[80:81]
	v_add_nc_u32_e32 v80, s11, v80
	global_store_dword v[64:65], v60, off
	global_store_dword v[62:63], v61, off
	v_add_co_u32 v66, vcc_lo, s16, v66
	v_add_co_ci_u32_e64 v67, null, s17, v67, vcc_lo
	v_lshlrev_b64 v[59:60], 2, v[80:81]
	v_add_nc_u32_e32 v80, s11, v80
	v_add_co_u32 v61, vcc_lo, s16, v68
	global_store_dword v[66:67], v58, off
	v_add_co_ci_u32_e64 v62, null, s17, v69, vcc_lo
	v_lshlrev_b64 v[63:64], 2, v[80:81]
	v_add_nc_u32_e32 v80, s11, v80
	v_add_co_u32 v58, vcc_lo, s16, v59
	v_add_co_ci_u32_e64 v59, null, s17, v60, vcc_lo
	v_lshlrev_b64 v[65:66], 2, v[80:81]
	v_add_nc_u32_e32 v80, s11, v80
	global_store_dword v[61:62], v56, off
	global_store_dword v[58:59], v57, off
	v_add_co_u32 v63, vcc_lo, s16, v63
	v_add_co_ci_u32_e64 v64, null, s17, v64, vcc_lo
	v_lshlrev_b64 v[56:57], 2, v[80:81]
	v_add_nc_u32_e32 v80, s11, v80
	v_add_co_u32 v58, vcc_lo, s16, v65
	global_store_dword v[63:64], v55, off
	v_add_co_ci_u32_e64 v59, null, s17, v66, vcc_lo
	v_lshlrev_b64 v[60:61], 2, v[80:81]
	v_add_nc_u32_e32 v80, s11, v80
	v_add_co_u32 v55, vcc_lo, s16, v56
	v_add_co_ci_u32_e64 v56, null, s17, v57, vcc_lo
	v_lshlrev_b64 v[62:63], 2, v[80:81]
	v_add_nc_u32_e32 v80, s11, v80
	global_store_dword v[58:59], v52, off
	global_store_dword v[55:56], v53, off
	v_add_co_u32 v60, vcc_lo, s16, v60
	v_add_co_ci_u32_e64 v61, null, s17, v61, vcc_lo
	v_lshlrev_b64 v[52:53], 2, v[80:81]
	v_add_nc_u32_e32 v80, s11, v80
	v_add_co_u32 v55, vcc_lo, s16, v62
	v_add_co_ci_u32_e64 v56, null, s17, v63, vcc_lo
	v_lshlrev_b64 v[57:58], 2, v[80:81]
	v_add_nc_u32_e32 v80, s11, v80
	v_add_co_u32 v52, vcc_lo, s16, v52
	global_store_dword v[60:61], v49, off
	v_add_co_ci_u32_e64 v53, null, s17, v53, vcc_lo
	v_lshlrev_b64 v[59:60], 2, v[80:81]
	v_add_nc_u32_e32 v80, s11, v80
	global_store_dword v[55:56], v50, off
	global_store_dword v[52:53], v51, off
	v_add_co_u32 v57, vcc_lo, s16, v57
	v_add_co_ci_u32_e64 v58, null, s17, v58, vcc_lo
	v_lshlrev_b64 v[49:50], 2, v[80:81]
	v_add_nc_u32_e32 v80, s11, v80
	v_add_co_u32 v51, vcc_lo, s16, v59
	global_store_dword v[57:58], v48, off
	v_add_co_ci_u32_e64 v52, null, s17, v60, vcc_lo
	v_lshlrev_b64 v[55:56], 2, v[80:81]
	v_add_nc_u32_e32 v80, s11, v80
	v_add_co_u32 v48, vcc_lo, s16, v49
	v_add_co_ci_u32_e64 v49, null, s17, v50, vcc_lo
	v_lshlrev_b64 v[57:58], 2, v[80:81]
	v_add_nc_u32_e32 v80, s11, v80
	global_store_dword v[51:52], v44, off
	global_store_dword v[48:49], v45, off
	v_add_co_u32 v55, vcc_lo, s16, v55
	v_add_co_ci_u32_e64 v56, null, s17, v56, vcc_lo
	v_lshlrev_b64 v[44:45], 2, v[80:81]
	v_add_nc_u32_e32 v80, s11, v80
	v_add_co_u32 v48, vcc_lo, s16, v57
	v_add_co_ci_u32_e64 v49, null, s17, v58, vcc_lo
	v_lshlrev_b64 v[50:51], 2, v[80:81]
	v_add_nc_u32_e32 v80, s11, v80
	;; [unrolled: 4-line block ×3, first 2 shown]
	global_store_dword v[55:56], v40, off
	global_store_dword v[48:49], v42, off
	;; [unrolled: 1-line block ×3, first 2 shown]
	v_add_co_u32 v50, vcc_lo, s16, v50
	v_lshlrev_b64 v[42:43], 2, v[80:81]
	v_add_nc_u32_e32 v80, s11, v80
	v_add_co_ci_u32_e64 v51, null, s17, v51, vcc_lo
	v_lshlrev_b64 v[44:45], 2, v[80:81]
	v_add_nc_u32_e32 v80, s11, v80
	global_store_dword v[50:51], v39, off
	v_add_co_u32 v39, vcc_lo, s16, v52
	v_add_co_ci_u32_e64 v40, null, s17, v53, vcc_lo
	v_lshlrev_b64 v[48:49], 2, v[80:81]
	v_add_nc_u32_e32 v80, s11, v80
	v_add_co_u32 v42, vcc_lo, s16, v42
	v_add_co_ci_u32_e64 v43, null, s17, v43, vcc_lo
	v_lshlrev_b64 v[50:51], 2, v[80:81]
	v_add_nc_u32_e32 v80, s11, v80
	;; [unrolled: 4-line block ×12, first 2 shown]
	v_add_co_u32 v67, vcc_lo, s16, v67
	v_add_co_ci_u32_e64 v68, null, s17, v68, vcc_lo
	v_add_co_u32 v69, vcc_lo, s16, v69
	v_add_co_ci_u32_e64 v70, null, s17, v70, vcc_lo
	global_store_dword v[39:40], v1, off
	global_store_dword v[42:43], v2, off
	;; [unrolled: 1-line block ×14, first 2 shown]
	v_lshlrev_b64 v[1:2], 2, v[80:81]
	v_add_nc_u32_e32 v80, s11, v80
	v_add_co_u32 v3, vcc_lo, s16, v71
	v_add_co_ci_u32_e64 v4, null, s17, v72, vcc_lo
	v_lshlrev_b64 v[5:6], 2, v[80:81]
	v_add_nc_u32_e32 v80, s11, v80
	v_add_co_u32 v1, vcc_lo, s16, v1
	v_mul_f32_e32 v7, 0.5, v15
	v_add_co_ci_u32_e64 v2, null, s17, v2, vcc_lo
	v_add_co_u32 v5, vcc_lo, s16, v5
	v_lshlrev_b64 v[9:10], 2, v[80:81]
	v_add_nc_u32_e32 v80, s11, v80
	v_mul_f32_e32 v11, 0.5, v17
	v_mul_f32_e32 v12, 0.5, v18
	v_add_co_ci_u32_e64 v6, null, s17, v6, vcc_lo
	global_store_dword v[3:4], v7, off
	global_store_dword v[1:2], v11, off
	global_store_dword v[5:6], v12, off
	v_lshlrev_b64 v[1:2], 2, v[80:81]
	v_add_nc_u32_e32 v80, s11, v80
	v_add_co_u32 v3, vcc_lo, s16, v9
	v_add_co_ci_u32_e64 v4, null, s17, v10, vcc_lo
	v_lshlrev_b64 v[5:6], 2, v[80:81]
	v_add_nc_u32_e32 v80, s11, v80
	v_add_co_u32 v1, vcc_lo, s16, v1
	v_mul_f32_e32 v11, 0.5, v8
	v_add_co_ci_u32_e64 v2, null, s17, v2, vcc_lo
	v_add_co_u32 v5, vcc_lo, s16, v5
	v_lshlrev_b64 v[7:8], 2, v[80:81]
	v_add_nc_u32_e32 v80, s11, v80
	v_mul_f32_e32 v9, 0.5, v19
	v_add_co_ci_u32_e64 v6, null, s17, v6, vcc_lo
	global_store_dword v[3:4], v11, off
	global_store_dword v[1:2], v9, off
	global_store_dword v[5:6], v0, off
	v_lshlrev_b64 v[0:1], 2, v[80:81]
	v_add_nc_u32_e32 v80, s11, v80
	v_add_co_u32 v2, vcc_lo, s16, v7
	v_add_co_ci_u32_e64 v3, null, s17, v8, vcc_lo
	v_lshlrev_b64 v[4:5], 2, v[80:81]
	v_add_nc_u32_e32 v80, s11, v80
	v_add_co_u32 v0, vcc_lo, s16, v0
	s_waitcnt vmcnt(22)
	v_mul_f32_e32 v9, 0.5, v20
	v_add_co_ci_u32_e64 v1, null, s17, v1, vcc_lo
	v_add_co_u32 v4, vcc_lo, s16, v4
	v_lshlrev_b64 v[6:7], 2, v[80:81]
	v_add_nc_u32_e32 v80, s11, v80
	s_waitcnt vmcnt(21)
	v_mul_f32_e32 v8, 0.5, v21
	s_waitcnt vmcnt(20)
	v_mul_f32_e32 v10, 0.5, v22
	v_add_co_ci_u32_e64 v5, null, s17, v5, vcc_lo
	global_store_dword v[2:3], v9, off
	global_store_dword v[0:1], v8, off
	global_store_dword v[4:5], v10, off
	v_lshlrev_b64 v[0:1], 2, v[80:81]
	v_add_nc_u32_e32 v80, s11, v80
	v_add_co_u32 v2, vcc_lo, s16, v6
	v_add_co_ci_u32_e64 v3, null, s17, v7, vcc_lo
	v_lshlrev_b64 v[4:5], 2, v[80:81]
	v_add_nc_u32_e32 v80, s11, v80
	v_add_co_u32 v0, vcc_lo, s16, v0
	s_waitcnt vmcnt(19)
	v_mul_f32_e32 v8, 0.5, v23
	v_add_co_ci_u32_e64 v1, null, s17, v1, vcc_lo
	v_add_co_u32 v4, vcc_lo, s16, v4
	v_lshlrev_b64 v[6:7], 2, v[80:81]
	v_add_nc_u32_e32 v80, s11, v80
	s_waitcnt vmcnt(18)
	v_mul_f32_e32 v9, 0.5, v24
	s_waitcnt vmcnt(17)
	;; [unrolled: 21-line block ×6, first 2 shown]
	v_mul_f32_e32 v10, 0.5, v37
	v_add_co_ci_u32_e64 v5, null, s17, v5, vcc_lo
	global_store_dword v[2:3], v8, off
	global_store_dword v[0:1], v9, off
	;; [unrolled: 1-line block ×3, first 2 shown]
	v_lshlrev_b64 v[0:1], 2, v[80:81]
	v_add_nc_u32_e32 v80, s11, v80
	v_add_co_u32 v2, vcc_lo, s16, v6
	v_add_co_ci_u32_e64 v3, null, s17, v7, vcc_lo
	v_lshlrev_b64 v[4:5], 2, v[80:81]
	v_add_nc_u32_e32 v80, s11, v80
	v_add_co_u32 v0, vcc_lo, s16, v0
	v_add_co_ci_u32_e64 v1, null, s17, v1, vcc_lo
	v_lshlrev_b64 v[6:7], 2, v[80:81]
	v_add_nc_u32_e32 v80, s11, v80
	v_add_co_u32 v4, vcc_lo, s16, v4
	s_waitcnt vmcnt(4)
	v_mul_f32_e32 v10, 0.5, v38
	v_add_co_ci_u32_e64 v5, null, s17, v5, vcc_lo
	v_lshlrev_b64 v[8:9], 2, v[80:81]
	v_add_co_u32 v6, vcc_lo, s16, v6
	s_waitcnt vmcnt(3)
	v_mul_f32_e32 v11, 0.5, v41
	s_waitcnt vmcnt(2)
	v_mul_f32_e32 v12, 0.5, v46
	v_add_co_ci_u32_e64 v7, null, s17, v7, vcc_lo
	v_add_co_u32 v8, vcc_lo, s16, v8
	s_waitcnt vmcnt(1)
	v_mul_f32_e32 v13, 0.5, v47
	s_waitcnt vmcnt(0)
	v_mul_f32_e32 v14, 0.5, v54
	v_add_co_ci_u32_e64 v9, null, s17, v9, vcc_lo
	global_store_dword v[2:3], v10, off
	global_store_dword v[0:1], v11, off
	;; [unrolled: 1-line block ×5, first 2 shown]
.LBB6_32:
	s_endpgm
	.section	.rodata,"a",@progbits
	.p2align	6, 0x0
	.amdhsa_kernel _ZL11fasten_mainILm64EEviiPK4AtomS2_PKfS4_S4_S4_S4_S4_PfPK8FFParamsi
		.amdhsa_group_segment_fixed_size 0
		.amdhsa_private_segment_fixed_size 5152
		.amdhsa_kernarg_size 352
		.amdhsa_user_sgpr_count 6
		.amdhsa_user_sgpr_private_segment_buffer 1
		.amdhsa_user_sgpr_dispatch_ptr 0
		.amdhsa_user_sgpr_queue_ptr 0
		.amdhsa_user_sgpr_kernarg_segment_ptr 1
		.amdhsa_user_sgpr_dispatch_id 0
		.amdhsa_user_sgpr_flat_scratch_init 0
		.amdhsa_user_sgpr_private_segment_size 0
		.amdhsa_wavefront_size32 1
		.amdhsa_uses_dynamic_stack 0
		.amdhsa_system_sgpr_private_segment_wavefront_offset 1
		.amdhsa_system_sgpr_workgroup_id_x 1
		.amdhsa_system_sgpr_workgroup_id_y 0
		.amdhsa_system_sgpr_workgroup_id_z 0
		.amdhsa_system_sgpr_workgroup_info 0
		.amdhsa_system_vgpr_workitem_id 0
		.amdhsa_next_free_vgpr 128
		.amdhsa_next_free_sgpr 35
		.amdhsa_reserve_vcc 1
		.amdhsa_reserve_flat_scratch 0
		.amdhsa_float_round_mode_32 0
		.amdhsa_float_round_mode_16_64 0
		.amdhsa_float_denorm_mode_32 3
		.amdhsa_float_denorm_mode_16_64 3
		.amdhsa_dx10_clamp 1
		.amdhsa_ieee_mode 1
		.amdhsa_fp16_overflow 0
		.amdhsa_workgroup_processor_mode 1
		.amdhsa_memory_ordered 1
		.amdhsa_forward_progress 1
		.amdhsa_shared_vgpr_count 0
		.amdhsa_exception_fp_ieee_invalid_op 0
		.amdhsa_exception_fp_denorm_src 0
		.amdhsa_exception_fp_ieee_div_zero 0
		.amdhsa_exception_fp_ieee_overflow 0
		.amdhsa_exception_fp_ieee_underflow 0
		.amdhsa_exception_fp_ieee_inexact 0
		.amdhsa_exception_int_div_zero 0
	.end_amdhsa_kernel
	.section	.text._ZL11fasten_mainILm64EEviiPK4AtomS2_PKfS4_S4_S4_S4_S4_PfPK8FFParamsi,"axG",@progbits,_ZL11fasten_mainILm64EEviiPK4AtomS2_PKfS4_S4_S4_S4_S4_PfPK8FFParamsi,comdat
.Lfunc_end6:
	.size	_ZL11fasten_mainILm64EEviiPK4AtomS2_PKfS4_S4_S4_S4_S4_PfPK8FFParamsi, .Lfunc_end6-_ZL11fasten_mainILm64EEviiPK4AtomS2_PKfS4_S4_S4_S4_S4_PfPK8FFParamsi
                                        ; -- End function
	.set _ZL11fasten_mainILm64EEviiPK4AtomS2_PKfS4_S4_S4_S4_S4_PfPK8FFParamsi.num_vgpr, 128
	.set _ZL11fasten_mainILm64EEviiPK4AtomS2_PKfS4_S4_S4_S4_S4_PfPK8FFParamsi.num_agpr, 0
	.set _ZL11fasten_mainILm64EEviiPK4AtomS2_PKfS4_S4_S4_S4_S4_PfPK8FFParamsi.numbered_sgpr, 35
	.set _ZL11fasten_mainILm64EEviiPK4AtomS2_PKfS4_S4_S4_S4_S4_PfPK8FFParamsi.num_named_barrier, 0
	.set _ZL11fasten_mainILm64EEviiPK4AtomS2_PKfS4_S4_S4_S4_S4_PfPK8FFParamsi.private_seg_size, 5152
	.set _ZL11fasten_mainILm64EEviiPK4AtomS2_PKfS4_S4_S4_S4_S4_PfPK8FFParamsi.uses_vcc, 1
	.set _ZL11fasten_mainILm64EEviiPK4AtomS2_PKfS4_S4_S4_S4_S4_PfPK8FFParamsi.uses_flat_scratch, 0
	.set _ZL11fasten_mainILm64EEviiPK4AtomS2_PKfS4_S4_S4_S4_S4_PfPK8FFParamsi.has_dyn_sized_stack, 0
	.set _ZL11fasten_mainILm64EEviiPK4AtomS2_PKfS4_S4_S4_S4_S4_PfPK8FFParamsi.has_recursion, 0
	.set _ZL11fasten_mainILm64EEviiPK4AtomS2_PKfS4_S4_S4_S4_S4_PfPK8FFParamsi.has_indirect_call, 0
	.section	.AMDGPU.csdata,"",@progbits
; Kernel info:
; codeLenInByte = 51044
; TotalNumSgprs: 37
; NumVgprs: 128
; ScratchSize: 5152
; MemoryBound: 0
; FloatMode: 240
; IeeeMode: 1
; LDSByteSize: 0 bytes/workgroup (compile time only)
; SGPRBlocks: 0
; VGPRBlocks: 15
; NumSGPRsForWavesPerEU: 37
; NumVGPRsForWavesPerEU: 128
; Occupancy: 8
; WaveLimiterHint : 1
; COMPUTE_PGM_RSRC2:SCRATCH_EN: 1
; COMPUTE_PGM_RSRC2:USER_SGPR: 6
; COMPUTE_PGM_RSRC2:TRAP_HANDLER: 0
; COMPUTE_PGM_RSRC2:TGID_X_EN: 1
; COMPUTE_PGM_RSRC2:TGID_Y_EN: 0
; COMPUTE_PGM_RSRC2:TGID_Z_EN: 0
; COMPUTE_PGM_RSRC2:TIDIG_COMP_CNT: 0
	.section	.text._ZL11fasten_mainILm128EEviiPK4AtomS2_PKfS4_S4_S4_S4_S4_PfPK8FFParamsi,"axG",@progbits,_ZL11fasten_mainILm128EEviiPK4AtomS2_PKfS4_S4_S4_S4_S4_PfPK8FFParamsi,comdat
	.globl	_ZL11fasten_mainILm128EEviiPK4AtomS2_PKfS4_S4_S4_S4_S4_PfPK8FFParamsi ; -- Begin function _ZL11fasten_mainILm128EEviiPK4AtomS2_PKfS4_S4_S4_S4_S4_PfPK8FFParamsi
	.p2align	8
	.type	_ZL11fasten_mainILm128EEviiPK4AtomS2_PKfS4_S4_S4_S4_S4_PfPK8FFParamsi,@function
_ZL11fasten_mainILm128EEviiPK4AtomS2_PKfS4_S4_S4_S4_S4_PfPK8FFParamsi: ; @_ZL11fasten_mainILm128EEviiPK4AtomS2_PKfS4_S4_S4_S4_S4_PfPK8FFParamsi
; %bb.0:
	s_add_u32 s0, s0, s7
	s_clause 0x1
	s_load_dword s7, s[4:5], 0x6c
	s_load_dword s8, s[4:5], 0x58
	s_addc_u32 s1, s1, 0
	s_load_dwordx16 s[36:51], s[4:5], 0x8
	v_mov_b32_e32 v3, 0
	s_mov_b32 s9, 0
	s_movk_i32 s11, 0x210
	s_mov_b32 s12, 0x7fffff
	s_mov_b32 s13, 0xb94c1982
	;; [unrolled: 1-line block ×3, first 2 shown]
	s_waitcnt lgkmcnt(0)
	s_and_b32 s17, s7, 0xffff
	s_add_i32 s7, s8, 0xffffff80
	s_mul_i32 s6, s6, s17
	s_lshl_b32 s10, s17, 2
	v_lshl_add_u32 v8, s6, 7, v0
	v_cmp_gt_i32_e64 s6, s8, v8
	v_cndmask_b32_e64 v0, s7, v8, s6
	v_ashrrev_i32_e32 v1, 31, v0
	v_lshlrev_b64 v[0:1], 2, v[0:1]
	s_branch .LBB7_2
.LBB7_1:                                ;   in Loop: Header=BB7_2 Depth=1
	s_or_b32 exec_lo, exec_lo, s7
	v_add_co_u32 v21, vcc_lo, s46, v0
	v_add_co_ci_u32_e64 v22, null, s47, v1, vcc_lo
	v_add_co_u32 v24, vcc_lo, s48, v0
	v_add_co_ci_u32_e64 v25, null, s49, v1, vcc_lo
	;; [unrolled: 2-line block ×3, first 2 shown]
	global_load_dword v21, v[21:22], off
	global_load_dword v22, v[24:25], off
	;; [unrolled: 1-line block ×3, first 2 shown]
	v_mul_f32_e32 v25, v19, v19
	v_mul_f32_e32 v27, v15, v15
	;; [unrolled: 1-line block ×3, first 2 shown]
	v_and_b32_e32 v26, 1, v20
	v_mul_f32_e32 v31, v9, v9
	v_fmaak_f32 v39, s13, v25, 0x3c0881c4
	v_fmaak_f32 v40, s14, v25, 0xbab64f3b
	;; [unrolled: 1-line block ×10, first 2 shown]
	v_mul_f32_e32 v39, v25, v39
	v_fmaak_f32 v40, v25, v40, 0xbf000004
	v_and_b32_e32 v28, 1, v17
	v_mul_f32_e32 v33, v6, v6
	v_fmaak_f32 v45, s13, v31, 0x3c0881c4
	v_fmaak_f32 v46, s14, v31, 0xbab64f3b
	;; [unrolled: 1-line block ×4, first 2 shown]
	v_mul_f32_e32 v41, v27, v41
	v_fmaak_f32 v42, v27, v42, 0xbf000004
	v_fmac_f32_e32 v19, v19, v39
	v_fma_f32 v25, v25, v40, 1.0
	v_cmp_eq_u32_e32 vcc_lo, 0, v26
	v_and_b32_e32 v30, 1, v14
	v_mul_f32_e32 v35, v2, v2
	v_fmaak_f32 v47, s13, v33, 0x3c0881c4
	v_fmaak_f32 v48, s14, v33, 0xbab64f3b
	;; [unrolled: 1-line block ×4, first 2 shown]
	v_mul_f32_e32 v43, v29, v43
	v_fmaak_f32 v44, v29, v44, 0xbf000004
	v_fmac_f32_e32 v15, v15, v41
	v_fma_f32 v27, v27, v42, 1.0
	v_cndmask_b32_e32 v19, v25, v19, vcc_lo
	v_cmp_eq_u32_e32 vcc_lo, 0, v28
	v_and_b32_e32 v32, 1, v11
	v_fmaak_f32 v49, s13, v35, 0x3c0881c4
	v_fmaak_f32 v50, s14, v35, 0xbab64f3b
	;; [unrolled: 1-line block ×4, first 2 shown]
	v_mul_f32_e32 v45, v31, v45
	v_fmaak_f32 v46, v31, v46, 0xbf000004
	v_fmac_f32_e32 v13, v13, v43
	v_fma_f32 v29, v29, v44, 1.0
	v_cndmask_b32_e64 v15, -v15, v27, vcc_lo
	v_cmp_eq_u32_e32 vcc_lo, 0, v30
	v_and_b32_e32 v34, 1, v7
	v_fmaak_f32 v49, v35, v49, 0xbe2aaa9d
	v_fmaak_f32 v50, v35, v50, 0x3d2aabf7
	v_mul_f32_e32 v47, v33, v47
	v_fmaak_f32 v48, v33, v48, 0xbf000004
	v_fmac_f32_e32 v9, v9, v45
	v_fma_f32 v31, v31, v46, 1.0
	v_cndmask_b32_e32 v13, v29, v13, vcc_lo
	v_cmp_eq_u32_e32 vcc_lo, 0, v32
	v_and_b32_e32 v36, 1, v23
	v_mul_f32_e32 v49, v35, v49
	v_fmaak_f32 v50, v35, v50, 0xbf000004
	v_fmac_f32_e32 v6, v6, v47
	v_fma_f32 v33, v33, v48, 1.0
	v_cndmask_b32_e64 v9, -v9, v31, vcc_lo
	v_cmp_eq_u32_e32 vcc_lo, 0, v34
	v_lshlrev_b32_e32 v20, 30, v20
	v_lshlrev_b32_e32 v14, 30, v14
	v_lshlrev_b32_e32 v11, 30, v11
	v_lshlrev_b32_e32 v7, 30, v7
	v_lshlrev_b32_e32 v23, 30, v23
	v_fmac_f32_e32 v2, v2, v49
	v_fma_f32 v35, v35, v50, 1.0
	v_cndmask_b32_e32 v6, v33, v6, vcc_lo
	v_cmp_eq_u32_e32 vcc_lo, 0, v36
	v_lshlrev_b32_e32 v17, 30, v17
	v_xor_b32_e32 v18, v18, v16
	v_xor_b32_e32 v12, v12, v10
	;; [unrolled: 1-line block ×3, first 2 shown]
	v_and_b32_e32 v20, 0x80000000, v20
	v_and_b32_e32 v14, 0x80000000, v14
	v_and_b32_e32 v11, 0x80000000, v11
	v_and_b32_e32 v7, 0x80000000, v7
	v_and_b32_e32 v23, 0x80000000, v23
	v_cndmask_b32_e64 v2, -v2, v35, vcc_lo
	v_and_b32_e32 v17, 0x80000000, v17
	v_xor3_b32 v18, v18, v20, v19
	v_cmp_class_f32_e64 vcc_lo, v10, 0x1f8
	v_xor3_b32 v10, v12, v14, v13
	v_xor_b32_e32 v9, v11, v9
	v_cmp_class_f32_e64 s7, v4, 0x1f8
	v_xor3_b32 v4, v5, v7, v6
	v_cmp_class_f32_e64 s8, v16, 0x1f8
	v_xor_b32_e32 v2, v23, v2
	v_xor_b32_e32 v15, v17, v15
	v_cndmask_b32_e32 v7, 0x7fc00000, v10, vcc_lo
	v_cndmask_b32_e64 v9, 0x7fc00000, v9, s7
	v_cndmask_b32_e64 v5, 0x7fc00000, v18, s8
	;; [unrolled: 1-line block ×3, first 2 shown]
	v_add_nc_u32_e64 v38, s9, 16
	s_add_i32 s9, s9, 4
	s_add_u32 s40, s40, s10
	s_addc_u32 s41, s41, 0
	v_cndmask_b32_e64 v2, 0x7fc00000, v2, s8
	s_add_u32 s42, s42, s10
	v_cndmask_b32_e32 v6, 0x7fc00000, v15, vcc_lo
	s_addc_u32 s43, s43, 0
	v_mul_f32_e32 v11, v4, v7
	v_mul_f32_e32 v12, v9, v5
	;; [unrolled: 1-line block ×3, first 2 shown]
	s_add_u32 s44, s44, s10
	s_addc_u32 s45, s45, 0
	s_add_u32 s46, s46, s10
	v_mul_f32_e32 v15, v9, v2
	v_mov_b32_e32 v37, s11
	s_addc_u32 s47, s47, 0
	v_mul_f32_e32 v10, v6, v2
	v_mul_f32_e32 v16, v4, v2
	s_add_u32 s48, s48, s10
	v_mul_f32_e32 v14, v6, v5
	v_mul_f32_e32 v17, v4, v6
	;; [unrolled: 1-line block ×3, first 2 shown]
	v_fma_f32 v9, v11, v2, -v12
	v_mul_f32_e32 v2, v13, v2
	s_addc_u32 s49, s49, 0
	v_xor_b32_e32 v7, 0x80000000, v7
	s_add_u32 s50, s50, s10
	s_addc_u32 s51, s51, 0
	s_add_i32 s11, s11, 48
	v_fmac_f32_e32 v15, v11, v5
	s_cmpk_lg_i32 s9, 0x200
	buffer_store_dword v10, v37, s[0:3], 0 offen
	v_fma_f32 v10, v13, v5, -v16
	v_fmac_f32_e32 v2, v4, v5
	buffer_store_dword v14, v37, s[0:3], 0 offen offset:16
	buffer_store_dword v7, v37, s[0:3], 0 offen offset:32
	;; [unrolled: 1-line block ×8, first 2 shown]
	s_waitcnt vmcnt(2)
	buffer_store_dword v21, v37, s[0:3], 0 offen offset:12
	s_waitcnt vmcnt(1)
	buffer_store_dword v22, v37, s[0:3], 0 offen offset:28
	;; [unrolled: 2-line block ×3, first 2 shown]
	buffer_store_dword v3, v38, s[0:3], 0 offen
	s_cbranch_scc0 .LBB7_26
.LBB7_2:                                ; =>This Inner Loop Header: Depth=1
	v_add_co_u32 v4, vcc_lo, s40, v0
	v_add_co_ci_u32_e64 v5, null, s41, v1, vcc_lo
                                        ; implicit-def: $vgpr7
                                        ; implicit-def: $vgpr6
	global_load_dword v4, v[4:5], off
	s_waitcnt vmcnt(0)
	v_and_b32_e32 v5, 0x7fffffff, v4
	v_cmp_ngt_f32_e64 s15, 0x48000000, |v4|
	v_lshrrev_b32_e32 v2, 23, v5
	v_and_or_b32 v10, v5, s12, 0x800000
	v_add_nc_u32_e32 v12, 0xffffff88, v2
	s_and_saveexec_b32 s7, s15
	s_xor_b32 s16, exec_lo, s7
	s_cbranch_execz .LBB7_4
; %bb.3:                                ;   in Loop: Header=BB7_2 Depth=1
	v_mad_u64_u32 v[6:7], null, 0xfe5163ab, v10, 0
	v_cmp_lt_u32_e32 vcc_lo, 63, v12
	v_mov_b32_e32 v2, v7
	v_cndmask_b32_e64 v7, 0, 0xffffffc0, vcc_lo
	v_mad_u64_u32 v[13:14], null, 0x3c439041, v10, v[2:3]
	v_add_nc_u32_e32 v7, v7, v12
	v_cmp_lt_u32_e64 s7, 31, v7
	v_mov_b32_e32 v2, v14
	v_cndmask_b32_e64 v9, 0, 0xffffffe0, s7
	v_mad_u64_u32 v[14:15], null, 0xdb629599, v10, v[2:3]
	v_add_nc_u32_e32 v7, v9, v7
	v_mov_b32_e32 v2, v15
	v_cmp_lt_u32_e64 s8, 31, v7
	v_cndmask_b32_e32 v6, v14, v6, vcc_lo
	v_mad_u64_u32 v[15:16], null, 0xf534ddc0, v10, v[2:3]
	v_mov_b32_e32 v2, v16
	v_mad_u64_u32 v[16:17], null, 0xfc2757d1, v10, v[2:3]
	v_mov_b32_e32 v2, v17
	;; [unrolled: 2-line block ×3, first 2 shown]
	v_cndmask_b32_e32 v9, v17, v15, vcc_lo
	v_mad_u64_u32 v[18:19], null, 0xa2f9836e, v10, v[2:3]
	v_cndmask_b32_e64 v2, 0, 0xffffffe0, s8
	v_add_nc_u32_e32 v2, v2, v7
	v_cndmask_b32_e32 v11, v18, v16, vcc_lo
	v_cndmask_b32_e32 v17, v19, v17, vcc_lo
	;; [unrolled: 1-line block ×4, first 2 shown]
	v_sub_nc_u32_e32 v15, 32, v2
	v_cndmask_b32_e64 v13, v11, v9, s7
	v_cndmask_b32_e64 v11, v17, v11, s7
	;; [unrolled: 1-line block ×4, first 2 shown]
	v_cmp_eq_u32_e32 vcc_lo, 0, v2
	v_cndmask_b32_e64 v6, v7, v6, s7
	v_cndmask_b32_e64 v11, v11, v13, s8
	;; [unrolled: 1-line block ×5, first 2 shown]
	v_alignbit_b32 v17, v11, v13, v15
	v_alignbit_b32 v14, v13, v9, v15
	v_alignbit_b32 v15, v9, v6, v15
	v_cndmask_b32_e32 v2, v17, v11, vcc_lo
	v_cndmask_b32_e32 v7, v14, v13, vcc_lo
	;; [unrolled: 1-line block ×3, first 2 shown]
	v_bfe_u32 v11, v2, 29, 1
	v_alignbit_b32 v13, v2, v7, 30
	v_alignbit_b32 v7, v7, v9, 30
	;; [unrolled: 1-line block ×3, first 2 shown]
	v_sub_nc_u32_e32 v14, 0, v11
	v_xor_b32_e32 v13, v13, v14
	v_xor_b32_e32 v7, v7, v14
	;; [unrolled: 1-line block ×3, first 2 shown]
	v_lshrrev_b32_e32 v14, 29, v2
	v_lshrrev_b32_e32 v2, 30, v2
	v_ffbh_u32_e32 v15, v13
	v_min_u32_e32 v15, 32, v15
	v_sub_nc_u32_e32 v9, 31, v15
	v_lshlrev_b32_e32 v16, 23, v15
	v_alignbit_b32 v13, v13, v7, v9
	v_alignbit_b32 v6, v7, v6, v9
	v_lshlrev_b32_e32 v7, 31, v14
	v_alignbit_b32 v9, v13, v6, 9
	v_or_b32_e32 v14, 0.5, v7
	v_lshrrev_b32_e32 v13, 9, v13
	v_or_b32_e32 v7, 0x33000000, v7
	v_ffbh_u32_e32 v17, v9
	v_sub_nc_u32_e32 v14, v14, v16
	v_min_u32_e32 v16, 32, v17
	v_or_b32_e32 v13, v13, v14
	v_not_b32_e32 v14, v16
	v_mul_f32_e32 v17, 0x3fc90fda, v13
	v_add_lshl_u32 v15, v16, v15, 23
	v_alignbit_b32 v6, v9, v6, v14
	v_fma_f32 v9, 0x3fc90fda, v13, -v17
	v_sub_nc_u32_e32 v7, v7, v15
	v_lshrrev_b32_e32 v6, 9, v6
	v_fmac_f32_e32 v9, 0x33a22168, v13
	v_or_b32_e32 v6, v7, v6
	v_add_nc_u32_e32 v7, v11, v2
	v_fmac_f32_e32 v9, 0x3fc90fda, v6
	v_add_f32_e32 v6, v17, v9
.LBB7_4:                                ;   in Loop: Header=BB7_2 Depth=1
	s_or_saveexec_b32 s7, s16
	v_mul_f32_e64 v2, 0x3f22f983, |v4|
	v_rndne_f32_e32 v2, v2
	s_xor_b32 exec_lo, exec_lo, s7
; %bb.5:                                ;   in Loop: Header=BB7_2 Depth=1
	v_fma_f32 v6, 0xbfc90fda, v2, |v4|
	v_cvt_i32_f32_e32 v7, v2
	v_fmac_f32_e32 v6, 0xb3a22168, v2
	v_fmac_f32_e32 v6, 0xa7c234c4, v2
; %bb.6:                                ;   in Loop: Header=BB7_2 Depth=1
	s_or_b32 exec_lo, exec_lo, s7
                                        ; implicit-def: $vgpr11
                                        ; implicit-def: $vgpr9
	s_and_saveexec_b32 s7, s15
	s_xor_b32 s15, exec_lo, s7
	s_cbranch_execz .LBB7_8
; %bb.7:                                ;   in Loop: Header=BB7_2 Depth=1
	v_mad_u64_u32 v[13:14], null, 0xfe5163ab, v10, 0
	v_cmp_lt_u32_e32 vcc_lo, 63, v12
	v_cndmask_b32_e64 v9, 0, 0xffffffc0, vcc_lo
	v_mov_b32_e32 v2, v14
	v_add_nc_u32_e32 v9, v9, v12
	v_mad_u64_u32 v[14:15], null, 0x3c439041, v10, v[2:3]
	v_cmp_lt_u32_e64 s7, 31, v9
	v_mov_b32_e32 v2, v15
	v_mad_u64_u32 v[15:16], null, 0xdb629599, v10, v[2:3]
	v_mov_b32_e32 v2, v16
	v_cndmask_b32_e32 v13, v15, v13, vcc_lo
	v_mad_u64_u32 v[16:17], null, 0xf534ddc0, v10, v[2:3]
	v_mov_b32_e32 v2, v17
	v_mad_u64_u32 v[17:18], null, 0xfc2757d1, v10, v[2:3]
	v_mov_b32_e32 v2, v18
	v_cndmask_b32_e64 v18, 0, 0xffffffe0, s7
	v_mad_u64_u32 v[11:12], null, 0x4e441529, v10, v[2:3]
	v_mov_b32_e32 v2, v12
	v_add_nc_u32_e32 v12, v18, v9
	v_cndmask_b32_e32 v18, v11, v16, vcc_lo
	v_mad_u64_u32 v[9:10], null, 0xa2f9836e, v10, v[2:3]
	v_cmp_lt_u32_e64 s8, 31, v12
	v_cndmask_b32_e64 v2, 0, 0xffffffe0, s8
	v_cndmask_b32_e32 v9, v9, v17, vcc_lo
	v_cndmask_b32_e32 v10, v10, v11, vcc_lo
	;; [unrolled: 1-line block ×3, first 2 shown]
	v_add_nc_u32_e32 v2, v2, v12
	v_cndmask_b32_e32 v12, v16, v14, vcc_lo
	v_cndmask_b32_e64 v14, v9, v18, s7
	v_cndmask_b32_e64 v9, v10, v9, s7
	;; [unrolled: 1-line block ×3, first 2 shown]
	v_sub_nc_u32_e32 v16, 32, v2
	v_cndmask_b32_e64 v11, v11, v12, s7
	v_cmp_eq_u32_e32 vcc_lo, 0, v2
	v_cndmask_b32_e64 v9, v9, v14, s8
	v_cndmask_b32_e64 v14, v14, v10, s8
	;; [unrolled: 1-line block ×3, first 2 shown]
	v_alignbit_b32 v17, v9, v14, v16
	v_alignbit_b32 v15, v14, v10, v16
	v_cndmask_b32_e32 v2, v17, v9, vcc_lo
	v_cndmask_b32_e64 v9, v12, v13, s7
	v_cndmask_b32_e32 v12, v15, v14, vcc_lo
	v_bfe_u32 v13, v2, 29, 1
	v_cndmask_b32_e64 v9, v11, v9, s8
	v_alignbit_b32 v11, v2, v12, 30
	v_sub_nc_u32_e32 v14, 0, v13
	v_alignbit_b32 v15, v10, v9, v16
	v_xor_b32_e32 v11, v11, v14
	v_cndmask_b32_e32 v10, v15, v10, vcc_lo
	v_ffbh_u32_e32 v15, v11
	v_alignbit_b32 v12, v12, v10, 30
	v_alignbit_b32 v9, v10, v9, 30
	v_min_u32_e32 v15, 32, v15
	v_xor_b32_e32 v10, v12, v14
	v_xor_b32_e32 v9, v9, v14
	v_lshrrev_b32_e32 v14, 29, v2
	v_lshrrev_b32_e32 v2, 30, v2
	v_sub_nc_u32_e32 v12, 31, v15
	v_lshlrev_b32_e32 v16, 23, v15
	v_alignbit_b32 v11, v11, v10, v12
	v_alignbit_b32 v9, v10, v9, v12
	v_lshlrev_b32_e32 v10, 31, v14
	v_alignbit_b32 v12, v11, v9, 9
	v_or_b32_e32 v14, 0.5, v10
	v_lshrrev_b32_e32 v11, 9, v11
	v_or_b32_e32 v10, 0x33000000, v10
	v_ffbh_u32_e32 v17, v12
	v_sub_nc_u32_e32 v14, v14, v16
	v_min_u32_e32 v16, 32, v17
	v_or_b32_e32 v11, v11, v14
	v_not_b32_e32 v14, v16
	v_mul_f32_e32 v17, 0x3fc90fda, v11
	v_add_lshl_u32 v15, v16, v15, 23
	v_alignbit_b32 v9, v12, v9, v14
	v_fma_f32 v12, 0x3fc90fda, v11, -v17
	v_sub_nc_u32_e32 v10, v10, v15
	v_lshrrev_b32_e32 v9, 9, v9
	v_fmac_f32_e32 v12, 0x33a22168, v11
	v_add_nc_u32_e32 v11, v13, v2
                                        ; implicit-def: $vgpr2
	v_or_b32_e32 v9, v10, v9
	v_fmac_f32_e32 v12, 0x3fc90fda, v9
	v_add_f32_e32 v9, v17, v12
	s_andn2_saveexec_b32 s7, s15
	s_cbranch_execnz .LBB7_9
	s_branch .LBB7_10
.LBB7_8:                                ;   in Loop: Header=BB7_2 Depth=1
	s_andn2_saveexec_b32 s7, s15
.LBB7_9:                                ;   in Loop: Header=BB7_2 Depth=1
	v_fma_f32 v9, 0xbfc90fda, v2, |v4|
	v_cvt_i32_f32_e32 v11, v2
	v_fmac_f32_e32 v9, 0xb3a22168, v2
	v_fmac_f32_e32 v9, 0xa7c234c4, v2
.LBB7_10:                               ;   in Loop: Header=BB7_2 Depth=1
	s_or_b32 exec_lo, exec_lo, s7
	v_add_co_u32 v12, vcc_lo, s42, v0
	v_add_co_ci_u32_e64 v13, null, s43, v1, vcc_lo
                                        ; implicit-def: $vgpr14
	global_load_dword v10, v[12:13], off
                                        ; implicit-def: $vgpr13
	s_waitcnt vmcnt(0)
	v_and_b32_e32 v12, 0x7fffffff, v10
	v_cmp_ngt_f32_e64 s15, 0x48000000, |v10|
	v_lshrrev_b32_e32 v2, 23, v12
	v_and_or_b32 v16, v12, s12, 0x800000
	v_add_nc_u32_e32 v18, 0xffffff88, v2
	s_and_saveexec_b32 s7, s15
	s_xor_b32 s16, exec_lo, s7
	s_cbranch_execz .LBB7_12
; %bb.11:                               ;   in Loop: Header=BB7_2 Depth=1
	v_mad_u64_u32 v[13:14], null, 0xfe5163ab, v16, 0
	v_cmp_lt_u32_e32 vcc_lo, 63, v18
	v_mov_b32_e32 v2, v14
	v_mad_u64_u32 v[14:15], null, 0x3c439041, v16, v[2:3]
	v_mov_b32_e32 v2, v15
	v_cndmask_b32_e64 v15, 0, 0xffffffc0, vcc_lo
	v_mad_u64_u32 v[19:20], null, 0xdb629599, v16, v[2:3]
	v_add_nc_u32_e32 v15, v15, v18
	v_cmp_lt_u32_e64 s7, 31, v15
	v_mov_b32_e32 v2, v20
	v_cndmask_b32_e32 v13, v19, v13, vcc_lo
	v_cndmask_b32_e64 v17, 0, 0xffffffe0, s7
	v_mad_u64_u32 v[20:21], null, 0xf534ddc0, v16, v[2:3]
	v_add_nc_u32_e32 v15, v17, v15
	v_mov_b32_e32 v2, v21
	v_cmp_lt_u32_e64 s8, 31, v15
	v_cndmask_b32_e32 v14, v20, v14, vcc_lo
	v_mad_u64_u32 v[21:22], null, 0xfc2757d1, v16, v[2:3]
	v_cndmask_b32_e64 v13, v14, v13, s7
	v_mov_b32_e32 v2, v22
	v_mad_u64_u32 v[22:23], null, 0x4e441529, v16, v[2:3]
	v_mov_b32_e32 v2, v23
	v_cndmask_b32_e32 v17, v22, v20, vcc_lo
	v_mad_u64_u32 v[23:24], null, 0xa2f9836e, v16, v[2:3]
	v_cndmask_b32_e64 v2, 0, 0xffffffe0, s8
	v_add_nc_u32_e32 v2, v2, v15
	v_cndmask_b32_e32 v23, v23, v21, vcc_lo
	v_cndmask_b32_e32 v22, v24, v22, vcc_lo
	;; [unrolled: 1-line block ×3, first 2 shown]
	v_cmp_eq_u32_e32 vcc_lo, 0, v2
	v_cndmask_b32_e64 v15, v23, v17, s7
	v_cndmask_b32_e64 v20, v22, v23, s7
	;; [unrolled: 1-line block ×3, first 2 shown]
	v_sub_nc_u32_e32 v22, 32, v2
	v_cndmask_b32_e64 v21, v21, v14, s7
	v_cndmask_b32_e64 v20, v20, v15, s8
	v_cndmask_b32_e64 v15, v15, v17, s8
	v_cndmask_b32_e64 v17, v17, v21, s8
	v_cndmask_b32_e64 v13, v21, v13, s8
	v_alignbit_b32 v23, v20, v15, v22
	v_alignbit_b32 v19, v15, v17, v22
	;; [unrolled: 1-line block ×3, first 2 shown]
	v_cndmask_b32_e32 v2, v23, v20, vcc_lo
	v_cndmask_b32_e32 v14, v19, v15, vcc_lo
	;; [unrolled: 1-line block ×3, first 2 shown]
	v_bfe_u32 v15, v2, 29, 1
	v_alignbit_b32 v19, v2, v14, 30
	v_alignbit_b32 v14, v14, v17, 30
	;; [unrolled: 1-line block ×3, first 2 shown]
	v_sub_nc_u32_e32 v20, 0, v15
	v_xor_b32_e32 v19, v19, v20
	v_xor_b32_e32 v14, v14, v20
	v_xor_b32_e32 v13, v13, v20
	v_lshrrev_b32_e32 v20, 29, v2
	v_lshrrev_b32_e32 v2, 30, v2
	v_ffbh_u32_e32 v21, v19
	v_min_u32_e32 v21, 32, v21
	v_sub_nc_u32_e32 v17, 31, v21
	v_lshlrev_b32_e32 v22, 23, v21
	v_alignbit_b32 v19, v19, v14, v17
	v_alignbit_b32 v13, v14, v13, v17
	v_lshlrev_b32_e32 v14, 31, v20
	v_alignbit_b32 v17, v19, v13, 9
	v_or_b32_e32 v20, 0.5, v14
	v_lshrrev_b32_e32 v19, 9, v19
	v_or_b32_e32 v14, 0x33000000, v14
	v_ffbh_u32_e32 v23, v17
	v_sub_nc_u32_e32 v20, v20, v22
	v_min_u32_e32 v22, 32, v23
	v_or_b32_e32 v19, v19, v20
	v_not_b32_e32 v20, v22
	v_mul_f32_e32 v23, 0x3fc90fda, v19
	v_add_lshl_u32 v21, v22, v21, 23
	v_alignbit_b32 v13, v17, v13, v20
	v_fma_f32 v17, 0x3fc90fda, v19, -v23
	v_sub_nc_u32_e32 v14, v14, v21
	v_lshrrev_b32_e32 v13, 9, v13
	v_fmac_f32_e32 v17, 0x33a22168, v19
	v_or_b32_e32 v13, v14, v13
	v_add_nc_u32_e32 v14, v15, v2
	v_fmac_f32_e32 v17, 0x3fc90fda, v13
	v_add_f32_e32 v13, v23, v17
.LBB7_12:                               ;   in Loop: Header=BB7_2 Depth=1
	s_or_saveexec_b32 s7, s16
	v_mul_f32_e64 v2, 0x3f22f983, |v10|
	v_rndne_f32_e32 v2, v2
	s_xor_b32 exec_lo, exec_lo, s7
; %bb.13:                               ;   in Loop: Header=BB7_2 Depth=1
	v_fma_f32 v13, 0xbfc90fda, v2, |v10|
	v_cvt_i32_f32_e32 v14, v2
	v_fmac_f32_e32 v13, 0xb3a22168, v2
	v_fmac_f32_e32 v13, 0xa7c234c4, v2
; %bb.14:                               ;   in Loop: Header=BB7_2 Depth=1
	s_or_b32 exec_lo, exec_lo, s7
                                        ; implicit-def: $vgpr17
                                        ; implicit-def: $vgpr15
	s_and_saveexec_b32 s7, s15
	s_xor_b32 s15, exec_lo, s7
	s_cbranch_execz .LBB7_16
; %bb.15:                               ;   in Loop: Header=BB7_2 Depth=1
	v_mad_u64_u32 v[19:20], null, 0xfe5163ab, v16, 0
	v_cmp_lt_u32_e32 vcc_lo, 63, v18
	v_cndmask_b32_e64 v15, 0, 0xffffffc0, vcc_lo
	v_mov_b32_e32 v2, v20
	v_add_nc_u32_e32 v15, v15, v18
	v_mad_u64_u32 v[20:21], null, 0x3c439041, v16, v[2:3]
	v_cmp_lt_u32_e64 s7, 31, v15
	v_mov_b32_e32 v2, v21
	v_mad_u64_u32 v[21:22], null, 0xdb629599, v16, v[2:3]
	v_mov_b32_e32 v2, v22
	v_cndmask_b32_e32 v19, v21, v19, vcc_lo
	v_mad_u64_u32 v[22:23], null, 0xf534ddc0, v16, v[2:3]
	v_mov_b32_e32 v2, v23
	v_mad_u64_u32 v[23:24], null, 0xfc2757d1, v16, v[2:3]
	v_mov_b32_e32 v2, v24
	v_cndmask_b32_e64 v24, 0, 0xffffffe0, s7
	v_mad_u64_u32 v[17:18], null, 0x4e441529, v16, v[2:3]
	v_mov_b32_e32 v2, v18
	v_add_nc_u32_e32 v18, v24, v15
	v_cndmask_b32_e32 v24, v17, v22, vcc_lo
	v_mad_u64_u32 v[15:16], null, 0xa2f9836e, v16, v[2:3]
	v_cmp_lt_u32_e64 s8, 31, v18
	v_cndmask_b32_e64 v2, 0, 0xffffffe0, s8
	v_cndmask_b32_e32 v15, v15, v23, vcc_lo
	v_cndmask_b32_e32 v16, v16, v17, vcc_lo
	;; [unrolled: 1-line block ×3, first 2 shown]
	v_add_nc_u32_e32 v2, v2, v18
	v_cndmask_b32_e32 v18, v22, v20, vcc_lo
	v_cndmask_b32_e64 v20, v15, v24, s7
	v_cndmask_b32_e64 v15, v16, v15, s7
	;; [unrolled: 1-line block ×3, first 2 shown]
	v_sub_nc_u32_e32 v22, 32, v2
	v_cndmask_b32_e64 v17, v17, v18, s7
	v_cmp_eq_u32_e32 vcc_lo, 0, v2
	v_cndmask_b32_e64 v15, v15, v20, s8
	v_cndmask_b32_e64 v20, v20, v16, s8
	;; [unrolled: 1-line block ×3, first 2 shown]
	v_alignbit_b32 v23, v15, v20, v22
	v_alignbit_b32 v21, v20, v16, v22
	v_cndmask_b32_e32 v2, v23, v15, vcc_lo
	v_cndmask_b32_e64 v15, v18, v19, s7
	v_cndmask_b32_e32 v18, v21, v20, vcc_lo
	v_bfe_u32 v19, v2, 29, 1
	v_cndmask_b32_e64 v15, v17, v15, s8
	v_alignbit_b32 v17, v2, v18, 30
	v_sub_nc_u32_e32 v20, 0, v19
	v_alignbit_b32 v21, v16, v15, v22
	v_xor_b32_e32 v17, v17, v20
	v_cndmask_b32_e32 v16, v21, v16, vcc_lo
	v_ffbh_u32_e32 v21, v17
	v_alignbit_b32 v18, v18, v16, 30
	v_alignbit_b32 v15, v16, v15, 30
	v_min_u32_e32 v21, 32, v21
	v_xor_b32_e32 v16, v18, v20
	v_xor_b32_e32 v15, v15, v20
	v_lshrrev_b32_e32 v20, 29, v2
	v_lshrrev_b32_e32 v2, 30, v2
	v_sub_nc_u32_e32 v18, 31, v21
	v_lshlrev_b32_e32 v22, 23, v21
	v_alignbit_b32 v17, v17, v16, v18
	v_alignbit_b32 v15, v16, v15, v18
	v_lshlrev_b32_e32 v16, 31, v20
	v_alignbit_b32 v18, v17, v15, 9
	v_or_b32_e32 v20, 0.5, v16
	v_lshrrev_b32_e32 v17, 9, v17
	v_or_b32_e32 v16, 0x33000000, v16
	v_ffbh_u32_e32 v23, v18
	v_sub_nc_u32_e32 v20, v20, v22
	v_min_u32_e32 v22, 32, v23
	v_or_b32_e32 v17, v17, v20
	v_not_b32_e32 v20, v22
	v_mul_f32_e32 v23, 0x3fc90fda, v17
	v_add_lshl_u32 v21, v22, v21, 23
	v_alignbit_b32 v15, v18, v15, v20
	v_fma_f32 v18, 0x3fc90fda, v17, -v23
	v_sub_nc_u32_e32 v16, v16, v21
	v_lshrrev_b32_e32 v15, 9, v15
	v_fmac_f32_e32 v18, 0x33a22168, v17
	v_add_nc_u32_e32 v17, v19, v2
                                        ; implicit-def: $vgpr2
	v_or_b32_e32 v15, v16, v15
	v_fmac_f32_e32 v18, 0x3fc90fda, v15
	v_add_f32_e32 v15, v23, v18
	s_andn2_saveexec_b32 s7, s15
	s_cbranch_execnz .LBB7_17
	s_branch .LBB7_18
.LBB7_16:                               ;   in Loop: Header=BB7_2 Depth=1
	s_andn2_saveexec_b32 s7, s15
.LBB7_17:                               ;   in Loop: Header=BB7_2 Depth=1
	v_fma_f32 v15, 0xbfc90fda, v2, |v10|
	v_cvt_i32_f32_e32 v17, v2
	v_fmac_f32_e32 v15, 0xb3a22168, v2
	v_fmac_f32_e32 v15, 0xa7c234c4, v2
.LBB7_18:                               ;   in Loop: Header=BB7_2 Depth=1
	s_or_b32 exec_lo, exec_lo, s7
	v_add_co_u32 v18, vcc_lo, s44, v0
	v_add_co_ci_u32_e64 v19, null, s45, v1, vcc_lo
                                        ; implicit-def: $vgpr20
	global_load_dword v16, v[18:19], off
                                        ; implicit-def: $vgpr19
	s_waitcnt vmcnt(0)
	v_and_b32_e32 v18, 0x7fffffff, v16
	v_cmp_ngt_f32_e64 s15, 0x48000000, |v16|
	v_lshrrev_b32_e32 v2, 23, v18
	v_and_or_b32 v21, v18, s12, 0x800000
	v_add_nc_u32_e32 v22, 0xffffff88, v2
	s_and_saveexec_b32 s7, s15
	s_xor_b32 s16, exec_lo, s7
	s_cbranch_execz .LBB7_20
; %bb.19:                               ;   in Loop: Header=BB7_2 Depth=1
	v_mad_u64_u32 v[19:20], null, 0xfe5163ab, v21, 0
	v_cmp_lt_u32_e32 vcc_lo, 63, v22
	v_mov_b32_e32 v2, v20
	v_cndmask_b32_e64 v20, 0, 0xffffffc0, vcc_lo
	v_mad_u64_u32 v[23:24], null, 0x3c439041, v21, v[2:3]
	v_add_nc_u32_e32 v20, v20, v22
	v_cmp_lt_u32_e64 s7, 31, v20
	v_mov_b32_e32 v2, v24
	v_cndmask_b32_e64 v29, 0, 0xffffffe0, s7
	v_mad_u64_u32 v[24:25], null, 0xdb629599, v21, v[2:3]
	v_add_nc_u32_e32 v20, v29, v20
	v_mov_b32_e32 v2, v25
	v_cmp_lt_u32_e64 s8, 31, v20
	v_cndmask_b32_e32 v19, v24, v19, vcc_lo
	v_mad_u64_u32 v[25:26], null, 0xf534ddc0, v21, v[2:3]
	v_mov_b32_e32 v2, v26
	v_mad_u64_u32 v[26:27], null, 0xfc2757d1, v21, v[2:3]
	v_mov_b32_e32 v2, v27
	v_mad_u64_u32 v[27:28], null, 0x4e441529, v21, v[2:3]
	v_mov_b32_e32 v2, v28
	v_cndmask_b32_e32 v30, v27, v25, vcc_lo
	v_mad_u64_u32 v[28:29], null, 0xa2f9836e, v21, v[2:3]
	v_cndmask_b32_e64 v2, 0, 0xffffffe0, s8
	v_add_nc_u32_e32 v2, v2, v20
	v_cndmask_b32_e32 v28, v28, v26, vcc_lo
	v_cndmask_b32_e32 v27, v29, v27, vcc_lo
	;; [unrolled: 1-line block ×4, first 2 shown]
	v_cmp_eq_u32_e32 vcc_lo, 0, v2
	v_cndmask_b32_e64 v23, v28, v30, s7
	v_cndmask_b32_e64 v25, v27, v28, s7
	;; [unrolled: 1-line block ×3, first 2 shown]
	v_sub_nc_u32_e32 v28, 32, v2
	v_cndmask_b32_e64 v26, v26, v20, s7
	v_cndmask_b32_e64 v19, v20, v19, s7
	;; [unrolled: 1-line block ×6, first 2 shown]
	v_alignbit_b32 v29, v25, v23, v28
	v_alignbit_b32 v24, v23, v27, v28
	;; [unrolled: 1-line block ×3, first 2 shown]
	v_cndmask_b32_e32 v2, v29, v25, vcc_lo
	v_cndmask_b32_e32 v20, v24, v23, vcc_lo
	;; [unrolled: 1-line block ×3, first 2 shown]
	v_bfe_u32 v23, v2, 29, 1
	v_alignbit_b32 v24, v2, v20, 30
	v_alignbit_b32 v20, v20, v26, 30
	;; [unrolled: 1-line block ×3, first 2 shown]
	v_sub_nc_u32_e32 v25, 0, v23
	v_xor_b32_e32 v24, v24, v25
	v_xor_b32_e32 v20, v20, v25
	;; [unrolled: 1-line block ×3, first 2 shown]
	v_lshrrev_b32_e32 v25, 29, v2
	v_lshrrev_b32_e32 v2, 30, v2
	v_ffbh_u32_e32 v27, v24
	v_min_u32_e32 v27, 32, v27
	v_sub_nc_u32_e32 v26, 31, v27
	v_lshlrev_b32_e32 v28, 23, v27
	v_alignbit_b32 v24, v24, v20, v26
	v_alignbit_b32 v19, v20, v19, v26
	v_lshlrev_b32_e32 v20, 31, v25
	v_alignbit_b32 v25, v24, v19, 9
	v_or_b32_e32 v26, 0.5, v20
	v_lshrrev_b32_e32 v24, 9, v24
	v_or_b32_e32 v20, 0x33000000, v20
	v_ffbh_u32_e32 v29, v25
	v_sub_nc_u32_e32 v26, v26, v28
	v_min_u32_e32 v28, 32, v29
	v_or_b32_e32 v24, v24, v26
	v_not_b32_e32 v26, v28
	v_mul_f32_e32 v29, 0x3fc90fda, v24
	v_add_lshl_u32 v27, v28, v27, 23
	v_alignbit_b32 v19, v25, v19, v26
	v_fma_f32 v25, 0x3fc90fda, v24, -v29
	v_sub_nc_u32_e32 v20, v20, v27
	v_lshrrev_b32_e32 v19, 9, v19
	v_fmac_f32_e32 v25, 0x33a22168, v24
	v_or_b32_e32 v19, v20, v19
	v_add_nc_u32_e32 v20, v23, v2
	v_fmac_f32_e32 v25, 0x3fc90fda, v19
	v_add_f32_e32 v19, v29, v25
.LBB7_20:                               ;   in Loop: Header=BB7_2 Depth=1
	s_or_saveexec_b32 s7, s16
	v_mul_f32_e64 v2, 0x3f22f983, |v16|
	v_rndne_f32_e32 v24, v2
	s_xor_b32 exec_lo, exec_lo, s7
; %bb.21:                               ;   in Loop: Header=BB7_2 Depth=1
	v_fma_f32 v19, 0xbfc90fda, v24, |v16|
	v_cvt_i32_f32_e32 v20, v24
	v_fmac_f32_e32 v19, 0xb3a22168, v24
	v_fmac_f32_e32 v19, 0xa7c234c4, v24
; %bb.22:                               ;   in Loop: Header=BB7_2 Depth=1
	s_or_b32 exec_lo, exec_lo, s7
                                        ; implicit-def: $vgpr23
                                        ; implicit-def: $vgpr2
	s_and_saveexec_b32 s7, s15
	s_xor_b32 s15, exec_lo, s7
	s_cbranch_execz .LBB7_24
; %bb.23:                               ;   in Loop: Header=BB7_2 Depth=1
	v_mad_u64_u32 v[23:24], null, 0xfe5163ab, v21, 0
	v_cmp_lt_u32_e32 vcc_lo, 63, v22
	v_cndmask_b32_e64 v29, 0, 0xffffffc0, vcc_lo
	v_mov_b32_e32 v2, v24
	v_add_nc_u32_e32 v22, v29, v22
	v_mad_u64_u32 v[24:25], null, 0x3c439041, v21, v[2:3]
	v_cmp_lt_u32_e64 s7, 31, v22
	v_mov_b32_e32 v2, v25
	v_cndmask_b32_e64 v30, 0, 0xffffffe0, s7
	v_mad_u64_u32 v[25:26], null, 0xdb629599, v21, v[2:3]
	v_mov_b32_e32 v2, v26
	v_cndmask_b32_e32 v23, v25, v23, vcc_lo
	v_mad_u64_u32 v[26:27], null, 0xf534ddc0, v21, v[2:3]
	v_mov_b32_e32 v2, v27
	v_cndmask_b32_e32 v24, v26, v24, vcc_lo
	v_mad_u64_u32 v[27:28], null, 0xfc2757d1, v21, v[2:3]
	v_mov_b32_e32 v2, v28
	v_mad_u64_u32 v[28:29], null, 0x4e441529, v21, v[2:3]
	v_mov_b32_e32 v2, v29
	v_add_nc_u32_e32 v29, v30, v22
	v_cndmask_b32_e32 v30, v28, v26, vcc_lo
	v_mad_u64_u32 v[21:22], null, 0xa2f9836e, v21, v[2:3]
	v_cmp_lt_u32_e64 s8, 31, v29
	v_cndmask_b32_e64 v2, 0, 0xffffffe0, s8
	v_cndmask_b32_e32 v21, v21, v27, vcc_lo
	v_cndmask_b32_e32 v22, v22, v28, vcc_lo
	;; [unrolled: 1-line block ×3, first 2 shown]
	v_add_nc_u32_e32 v2, v2, v29
	v_cndmask_b32_e64 v26, v21, v30, s7
	v_cndmask_b32_e64 v21, v22, v21, s7
	;; [unrolled: 1-line block ×4, first 2 shown]
	v_sub_nc_u32_e32 v28, 32, v2
	v_cmp_eq_u32_e32 vcc_lo, 0, v2
	v_cndmask_b32_e64 v21, v21, v26, s8
	v_cndmask_b32_e64 v26, v26, v22, s8
	;; [unrolled: 1-line block ×3, first 2 shown]
	v_alignbit_b32 v29, v21, v26, v28
	v_alignbit_b32 v25, v26, v22, v28
	v_cndmask_b32_e32 v2, v29, v21, vcc_lo
	v_cndmask_b32_e64 v21, v24, v23, s7
	v_cndmask_b32_e32 v23, v25, v26, vcc_lo
	v_bfe_u32 v24, v2, 29, 1
	v_cndmask_b32_e64 v21, v27, v21, s8
	v_alignbit_b32 v25, v2, v23, 30
	v_sub_nc_u32_e32 v26, 0, v24
	v_alignbit_b32 v27, v22, v21, v28
	v_xor_b32_e32 v25, v25, v26
	v_cndmask_b32_e32 v22, v27, v22, vcc_lo
	v_ffbh_u32_e32 v27, v25
	v_alignbit_b32 v23, v23, v22, 30
	v_alignbit_b32 v21, v22, v21, 30
	v_min_u32_e32 v27, 32, v27
	v_xor_b32_e32 v22, v23, v26
	v_xor_b32_e32 v21, v21, v26
	v_lshrrev_b32_e32 v26, 29, v2
	v_sub_nc_u32_e32 v23, 31, v27
	v_lshlrev_b32_e32 v28, 23, v27
	v_alignbit_b32 v25, v25, v22, v23
	v_alignbit_b32 v21, v22, v21, v23
	v_lshlrev_b32_e32 v22, 31, v26
	v_alignbit_b32 v23, v25, v21, 9
	v_or_b32_e32 v26, 0.5, v22
	v_lshrrev_b32_e32 v25, 9, v25
	v_or_b32_e32 v22, 0x33000000, v22
	v_ffbh_u32_e32 v29, v23
	v_sub_nc_u32_e32 v26, v26, v28
	v_min_u32_e32 v28, 32, v29
	v_or_b32_e32 v25, v25, v26
	v_not_b32_e32 v26, v28
	v_mul_f32_e32 v29, 0x3fc90fda, v25
	v_add_lshl_u32 v27, v28, v27, 23
	v_alignbit_b32 v21, v23, v21, v26
	v_fma_f32 v23, 0x3fc90fda, v25, -v29
	v_sub_nc_u32_e32 v22, v22, v27
	v_lshrrev_b32_e32 v21, 9, v21
	v_fmac_f32_e32 v23, 0x33a22168, v25
	v_or_b32_e32 v21, v22, v21
	v_fmac_f32_e32 v23, 0x3fc90fda, v21
	v_lshrrev_b32_e32 v21, 30, v2
	v_add_f32_e32 v2, v29, v23
	v_add_nc_u32_e32 v23, v24, v21
                                        ; implicit-def: $vgpr24
	s_andn2_saveexec_b32 s7, s15
	s_cbranch_execz .LBB7_1
	s_branch .LBB7_25
.LBB7_24:                               ;   in Loop: Header=BB7_2 Depth=1
	s_andn2_saveexec_b32 s7, s15
	s_cbranch_execz .LBB7_1
.LBB7_25:                               ;   in Loop: Header=BB7_2 Depth=1
	v_fma_f32 v2, 0xbfc90fda, v24, |v16|
	v_cvt_i32_f32_e32 v23, v24
	v_fmac_f32_e32 v2, 0xb3a22168, v24
	v_fmac_f32_e32 v2, 0xa7c234c4, v24
	s_branch .LBB7_1
.LBB7_26:
	s_clause 0x1
	s_load_dwordx2 s[8:9], s[4:5], 0x0
	s_load_dwordx4 s[20:23], s[4:5], 0x48
	v_mov_b32_e32 v9, 0
	s_mov_b32 s19, 0
	s_mov_b32 s24, s19
	s_waitcnt lgkmcnt(0)
	s_max_i32 s26, s9, 1
	s_max_i32 s27, s8, 1
.LBB7_27:                               ; =>This Loop Header: Depth=1
                                        ;     Child Loop BB7_28 Depth 2
                                        ;     Child Loop BB7_30 Depth 2
                                        ;       Child Loop BB7_31 Depth 3
	s_mov_b32 s25, s19
	s_lshl_b64 s[4:5], s[24:25], 4
	s_add_u32 s4, s38, s4
	s_addc_u32 s5, s39, s5
	global_load_dwordx4 v[4:7], v9, s[4:5]
	s_movk_i32 s4, 0x210
	s_mov_b32 s5, s19
	s_waitcnt vmcnt(0)
	v_ashrrev_i32_e32 v1, 31, v7
	v_mov_b32_e32 v0, v7
	v_lshlrev_b64 v[0:1], 4, v[0:1]
	v_add_co_u32 v0, vcc_lo, s22, v0
	v_add_co_ci_u32_e64 v1, null, s23, v1, vcc_lo
	global_load_dwordx4 v[0:3], v[0:1], off
.LBB7_28:                               ;   Parent Loop BB7_27 Depth=1
                                        ; =>  This Inner Loop Header: Depth=2
	v_mov_b32_e32 v7, s4
	v_add_nc_u32_e64 v57, 0x1a10, s5
	s_add_i32 s5, s5, 48
	s_addk_i32 s4, 0xc0
	s_cmpk_eq_i32 s5, 0x600
	s_clause 0x2f
	buffer_load_dword v10, v7, s[0:3], 0 offen
	buffer_load_dword v11, v7, s[0:3], 0 offen offset:12
	buffer_load_dword v12, v7, s[0:3], 0 offen offset:16
	;; [unrolled: 1-line block ×47, first 2 shown]
	s_waitcnt vmcnt(46)
	v_fmac_f32_e32 v11, v4, v10
	s_waitcnt vmcnt(44)
	v_fmac_f32_e32 v13, v4, v12
	;; [unrolled: 2-line block ×36, first 2 shown]
	buffer_store_dword v11, v57, s[0:3], 0 offen
	buffer_store_dword v13, v57, s[0:3], 0 offen offset:4
	buffer_store_dword v15, v57, s[0:3], 0 offen offset:8
	;; [unrolled: 1-line block ×11, first 2 shown]
	s_cbranch_scc0 .LBB7_28
; %bb.29:                               ;   in Loop: Header=BB7_27 Depth=1
	v_cmp_gt_f32_e64 s4, 0, v2
	v_cmp_lt_f32_e64 s5, 0, v2
	v_cmp_eq_u32_e64 s7, 0x46, v0
	v_cmp_eq_u32_e64 s8, 0x45, v0
	s_mov_b32 s18, 0
	v_cndmask_b32_e64 v0, 1.0, 0x40b00000, s4
	v_cndmask_b32_e64 v10, 0xff7fffff, 1.0, s4
.LBB7_30:                               ;   Parent Loop BB7_27 Depth=1
                                        ; =>  This Loop Header: Depth=2
                                        ;       Child Loop BB7_31 Depth 3
	s_lshl_b64 s[10:11], s[18:19], 4
	s_movk_i32 s28, 0x1a10
	s_add_u32 s10, s36, s10
	s_addc_u32 s11, s37, s11
	s_mov_b32 s29, 0
	global_load_dwordx4 v[4:7], v9, s[10:11]
	s_waitcnt vmcnt(0)
	v_ashrrev_i32_e32 v12, 31, v7
	v_mov_b32_e32 v11, v7
	v_lshlrev_b64 v[11:12], 4, v[11:12]
	v_add_co_u32 v11, vcc_lo, s22, v11
	v_add_co_ci_u32_e64 v12, null, s23, v12, vcc_lo
	global_load_dwordx4 v[12:15], v[11:12], off
	s_waitcnt vmcnt(0)
	v_cmp_gt_f32_e32 vcc_lo, 0, v14
	v_add_f32_e32 v7, v1, v13
	v_cmp_lt_f32_e64 s14, 0, v14
	v_cmp_neq_f32_e64 s9, 0, v14
	v_cmp_eq_u32_e64 s12, 0x46, v12
	v_cndmask_b32_e32 v11, v10, v0, vcc_lo
	v_div_scale_f32 v13, null, v7, v7, 1.0
	v_div_scale_f32 v21, s10, 1.0, v7, 1.0
	v_div_scale_f32 v16, null, v11, v11, 1.0
	v_rcp_f32_e32 v17, v13
	s_and_b32 s15, vcc_lo, s5
	s_mov_b32 vcc_lo, s10
	v_rcp_f32_e32 v18, v16
	v_cmp_eq_u32_e64 s13, 0x45, v12
	v_mul_f32_e32 v12, v3, v15
	s_and_b32 s14, s14, s4
	s_and_b32 s10, s12, s7
	s_or_b32 s25, s13, s8
	v_fma_f32 v19, -v13, v17, 1.0
	v_fma_f32 v20, -v16, v18, 1.0
	v_fmac_f32_e32 v17, v19, v17
	v_div_scale_f32 v19, s11, 1.0, v11, 1.0
	v_fmac_f32_e32 v18, v20, v18
	v_mul_f32_e32 v20, v21, v17
	v_mul_f32_e32 v22, v19, v18
	v_fma_f32 v23, -v13, v20, v21
	v_fma_f32 v24, -v16, v22, v19
	v_fmac_f32_e32 v20, v23, v17
	v_cndmask_b32_e64 v23, v14, -v14, s15
	v_fmac_f32_e32 v22, v24, v18
	v_fma_f32 v13, -v13, v20, v21
	v_cndmask_b32_e64 v21, v2, -v2, s14
	v_fma_f32 v14, -v16, v22, v19
	v_div_fmas_f32 v15, v13, v17, v20
	s_mov_b32 vcc_lo, s11
	v_cndmask_b32_e64 v13, 2.0, 4.0, s10
	v_div_fmas_f32 v16, v14, v18, v22
	v_cndmask_b32_e64 v14, 0.5, 0x3e800000, s10
	v_div_fixup_f32 v15, v15, v7, 1.0
	v_add_f32_e32 v17, v23, v21
	v_div_fixup_f32 v16, v16, v11, 1.0
.LBB7_31:                               ;   Parent Loop BB7_27 Depth=1
                                        ;     Parent Loop BB7_30 Depth=2
                                        ; =>    This Inner Loop Header: Depth=3
	v_mov_b32_e32 v18, s28
	s_add_i32 s28, s28, 48
	s_clause 0xb
	buffer_load_dword v23, v18, s[0:3], 0 offen
	buffer_load_dword v24, v18, s[0:3], 0 offen offset:4
	buffer_load_dword v25, v18, s[0:3], 0 offen offset:8
	;; [unrolled: 1-line block ×11, first 2 shown]
	v_add_nc_u32_e64 v18, s29, 16
	s_add_i32 s29, s29, 16
	s_clause 0x3
	buffer_load_dword v19, v18, s[0:3], 0 offen
	buffer_load_dword v20, v18, s[0:3], 0 offen offset:4
	buffer_load_dword v21, v18, s[0:3], 0 offen offset:8
	;; [unrolled: 1-line block ×3, first 2 shown]
	s_waitcnt vmcnt(15)
	v_sub_f32_e32 v23, v23, v4
	s_waitcnt vmcnt(14)
	v_sub_f32_e32 v24, v24, v5
	;; [unrolled: 2-line block ×6, first 2 shown]
	v_mul_f32_e32 v24, v24, v24
	s_waitcnt vmcnt(8)
	v_sub_f32_e32 v30, v30, v5
	v_sub_f32_e32 v29, v29, v4
	v_mul_f32_e32 v27, v27, v27
	s_waitcnt vmcnt(5)
	v_sub_f32_e32 v33, v33, v5
	v_fmac_f32_e32 v24, v23, v23
	v_mul_f32_e32 v30, v30, v30
	v_sub_f32_e32 v32, v32, v4
	v_fmac_f32_e32 v27, v26, v26
	v_mul_f32_e32 v33, v33, v33
	v_fmac_f32_e32 v24, v25, v25
	v_sub_f32_e32 v31, v31, v6
	v_fmac_f32_e32 v30, v29, v29
	s_waitcnt vmcnt(4)
	v_sub_f32_e32 v34, v34, v6
	v_fmac_f32_e32 v33, v32, v32
	v_fmac_f32_e32 v27, v28, v28
	v_mul_f32_e32 v23, 0x4f800000, v24
	v_cmp_gt_f32_e64 s12, 0xf800000, v24
	v_fmac_f32_e32 v30, v31, v31
	v_fmac_f32_e32 v33, v34, v34
	v_mul_f32_e32 v25, 0x4f800000, v27
	v_cmp_gt_f32_e32 vcc_lo, 0xf800000, v27
	v_cndmask_b32_e64 v23, v24, v23, s12
	v_mul_f32_e32 v26, 0x4f800000, v30
	v_cmp_gt_f32_e64 s10, 0xf800000, v30
	v_mul_f32_e32 v28, 0x4f800000, v33
	v_cmp_gt_f32_e64 s11, 0xf800000, v33
	v_cndmask_b32_e32 v24, v27, v25, vcc_lo
	v_sqrt_f32_e32 v27, v23
	v_cndmask_b32_e64 v25, v30, v26, s10
	v_cndmask_b32_e64 v26, v33, v28, s11
	v_sqrt_f32_e32 v28, v24
	v_sqrt_f32_e32 v29, v25
	;; [unrolled: 1-line block ×3, first 2 shown]
	v_add_nc_u32_e32 v31, -1, v27
	v_add_nc_u32_e32 v32, 1, v27
	v_add_nc_u32_e32 v33, -1, v28
	v_fma_f32 v39, -v31, v27, v23
	v_add_nc_u32_e32 v35, -1, v29
	v_add_nc_u32_e32 v34, 1, v28
	v_add_nc_u32_e32 v37, -1, v30
	v_fma_f32 v41, -v33, v28, v24
	v_cmp_ge_f32_e64 s13, 0, v39
	v_add_nc_u32_e32 v36, 1, v29
	v_fma_f32 v43, -v35, v29, v25
	v_add_nc_u32_e32 v38, 1, v30
	v_fma_f32 v45, -v37, v30, v26
	v_fma_f32 v40, -v32, v27, v23
	;; [unrolled: 1-line block ×3, first 2 shown]
	v_cndmask_b32_e64 v27, v27, v31, s13
	v_cmp_ge_f32_e64 s13, 0, v41
	v_fma_f32 v44, -v36, v29, v25
	v_cmp_ge_f32_e64 s14, 0, v43
	v_fma_f32 v46, -v38, v30, v26
	v_cmp_ge_f32_e64 s15, 0, v45
	v_cmp_lt_f32_e64 s16, 0, v40
	v_cndmask_b32_e64 v28, v28, v33, s13
	v_cmp_lt_f32_e64 s13, 0, v42
	v_cndmask_b32_e64 v29, v29, v35, s14
	;; [unrolled: 2-line block ×4, first 2 shown]
	v_cndmask_b32_e64 v28, v28, v34, s13
	v_cndmask_b32_e64 v29, v29, v36, s14
	;; [unrolled: 1-line block ×3, first 2 shown]
	v_mul_f32_e32 v31, 0x37800000, v27
	v_mul_f32_e32 v32, 0x37800000, v28
	;; [unrolled: 1-line block ×4, first 2 shown]
	v_cndmask_b32_e64 v27, v27, v31, s12
	v_cmp_class_f32_e64 s12, v23, 0x260
	v_cndmask_b32_e32 v28, v28, v32, vcc_lo
	v_cmp_class_f32_e64 vcc_lo, v24, 0x260
	v_cndmask_b32_e64 v29, v29, v33, s10
	v_cmp_class_f32_e64 s10, v25, 0x260
	v_cndmask_b32_e64 v30, v30, v34, s11
	v_cmp_class_f32_e64 s11, v26, 0x260
	v_cndmask_b32_e64 v23, v27, v23, s12
	v_cndmask_b32_e32 v24, v28, v24, vcc_lo
	v_cndmask_b32_e64 v25, v29, v25, s10
	v_cndmask_b32_e64 v26, v30, v26, s11
	v_sub_f32_e32 v27, v23, v7
	v_sub_f32_e32 v28, v24, v7
	;; [unrolled: 1-line block ×3, first 2 shown]
	v_fma_f32 v23, -v15, v23, 1.0
	v_sub_f32_e32 v30, v26, v7
	v_cmp_gt_f32_e32 vcc_lo, 0, v27
	v_cmp_lt_f32_e64 s10, v27, v13
	v_cmp_gt_f32_e64 s11, 0, v28
	v_cmp_lt_f32_e64 s12, v28, v13
	v_cmp_gt_f32_e64 s13, 0, v29
	;; [unrolled: 2-line block ×3, first 2 shown]
	v_cndmask_b32_e64 v31, 0, 0x42980000, vcc_lo
	v_fma_f32 v32, -v14, v27, 1.0
	v_fma_f32 v24, -v15, v24, 1.0
	v_cndmask_b32_e64 v33, 0, 1.0, s10
	v_fma_f32 v34, -v16, v27, 1.0
	v_cmp_lt_f32_e64 s10, v27, v11
	v_cndmask_b32_e64 v27, 0, 0x42980000, s11
	v_fma_f32 v35, -v14, v28, 1.0
	v_fma_f32 v25, -v15, v25, 1.0
	v_cndmask_b32_e64 v36, 0, 1.0, s12
	v_fma_f32 v37, -v16, v28, 1.0
	v_cmp_lt_f32_e64 s12, v28, v11
	v_cndmask_b32_e64 v28, 0, 0x42980000, s13
	;; [unrolled: 6-line block ×3, first 2 shown]
	v_fma_f32 v41, -v14, v30, 1.0
	v_cmp_lt_f32_e64 s16, v30, v13
	s_waitcnt vmcnt(3)
	v_fmac_f32_e32 v19, v23, v31
	v_cndmask_b32_e64 v23, v32, 1.0, vcc_lo
	s_waitcnt vmcnt(2)
	v_fmac_f32_e32 v20, v24, v27
	v_cndmask_b32_e64 v24, v35, 1.0, s11
	s_waitcnt vmcnt(1)
	v_fmac_f32_e32 v21, v25, v28
	v_cndmask_b32_e64 v25, v38, 1.0, s13
	v_cndmask_b32_e64 v42, 0, 1.0, s16
	s_waitcnt vmcnt(0)
	v_fmac_f32_e32 v22, v26, v29
	v_cndmask_b32_e64 v26, v41, 1.0, s15
	v_mul_f32_e32 v23, v33, v23
	v_mul_f32_e32 v24, v36, v24
	;; [unrolled: 1-line block ×3, first 2 shown]
	s_and_b32 s10, s9, s10
	v_mul_f32_e32 v26, v42, v26
	v_mul_f32_e32 v23, v12, v23
	v_cmp_lt_f32_e64 s16, v30, v11
	v_mul_f32_e32 v24, v12, v24
	v_fma_f32 v43, -v16, v30, 1.0
	v_cndmask_b32_e64 v30, 0, 1.0, s10
	s_and_b32 s10, s9, s12
	v_mul_f32_e32 v25, v12, v25
	v_mul_f32_e32 v26, v12, v26
	v_cndmask_b32_e64 v27, 0, 1.0, s10
	s_and_b32 s10, s9, s14
	v_cndmask_b32_e64 v23, v23, -|v23|, s25
	v_cndmask_b32_e64 v28, 0, 1.0, s10
	s_and_b32 s10, s9, s16
	v_cndmask_b32_e64 v24, v24, -|v24|, s25
	v_cndmask_b32_e64 v25, v25, -|v25|, s25
	v_cndmask_b32_e64 v29, 0, 1.0, s10
	v_cndmask_b32_e64 v26, v26, -|v26|, s25
	v_cndmask_b32_e64 v31, v34, 1.0, vcc_lo
	v_mul_f32_e32 v30, v17, v30
	v_fmac_f32_e32 v19, 0x42340000, v23
	v_cndmask_b32_e64 v32, v37, 1.0, s11
	v_mul_f32_e32 v27, v17, v27
	v_fmac_f32_e32 v20, 0x42340000, v24
	v_cndmask_b32_e64 v34, v40, 1.0, s13
	;; [unrolled: 3-line block ×3, first 2 shown]
	v_mul_f32_e32 v29, v17, v29
	v_fmac_f32_e32 v22, 0x42340000, v26
	v_fmac_f32_e32 v19, v31, v30
	v_fmac_f32_e32 v20, v32, v27
	v_fmac_f32_e32 v21, v34, v28
	s_cmpk_eq_i32 s29, 0x200
	v_fmac_f32_e32 v22, v35, v29
	buffer_store_dword v19, v18, s[0:3], 0 offen
	buffer_store_dword v20, v18, s[0:3], 0 offen offset:4
	buffer_store_dword v21, v18, s[0:3], 0 offen offset:8
	buffer_store_dword v22, v18, s[0:3], 0 offen offset:12
	s_cbranch_scc0 .LBB7_31
; %bb.32:                               ;   in Loop: Header=BB7_30 Depth=2
	s_add_i32 s18, s18, 1
	s_cmp_eq_u32 s18, s26
	s_cbranch_scc0 .LBB7_30
; %bb.33:                               ;   in Loop: Header=BB7_27 Depth=1
	s_add_i32 s24, s24, 1
	s_cmp_lg_u32 s24, s27
	s_cbranch_scc1 .LBB7_27
; %bb.34:
	s_and_saveexec_b32 s4, s6
	s_cbranch_execz .LBB7_36
; %bb.35:
	s_clause 0x21
	buffer_load_dword v16, off, s[0:3], 0 offset:16
	buffer_load_dword v40, off, s[0:3], 0 offset:20
	buffer_load_dword v15, off, s[0:3], 0 offset:24
	buffer_load_dword v17, off, s[0:3], 0 offset:28
	buffer_load_dword v37, off, s[0:3], 0 offset:32
	buffer_load_dword v18, off, s[0:3], 0 offset:36
	buffer_load_dword v30, off, s[0:3], 0 offset:40
	buffer_load_dword v22, off, s[0:3], 0 offset:44
	buffer_load_dword v20, off, s[0:3], 0 offset:48
	buffer_load_dword v39, off, s[0:3], 0 offset:52
	buffer_load_dword v38, off, s[0:3], 0 offset:56
	buffer_load_dword v31, off, s[0:3], 0 offset:60
	buffer_load_dword v36, off, s[0:3], 0 offset:64
	buffer_load_dword v35, off, s[0:3], 0 offset:68
	buffer_load_dword v34, off, s[0:3], 0 offset:72
	buffer_load_dword v33, off, s[0:3], 0 offset:76
	buffer_load_dword v32, off, s[0:3], 0 offset:80
	buffer_load_dword v29, off, s[0:3], 0 offset:84
	buffer_load_dword v28, off, s[0:3], 0 offset:88
	buffer_load_dword v14, off, s[0:3], 0 offset:92
	buffer_load_dword v19, off, s[0:3], 0 offset:96
	buffer_load_dword v21, off, s[0:3], 0 offset:100
	buffer_load_dword v6, off, s[0:3], 0 offset:104
	buffer_load_dword v10, off, s[0:3], 0 offset:108
	buffer_load_dword v2, off, s[0:3], 0 offset:112
	buffer_load_dword v4, off, s[0:3], 0 offset:116
	buffer_load_dword v0, off, s[0:3], 0 offset:120
	buffer_load_dword v1, off, s[0:3], 0 offset:124
	buffer_load_dword v5, off, s[0:3], 0 offset:128
	buffer_load_dword v11, off, s[0:3], 0 offset:132
	buffer_load_dword v23, off, s[0:3], 0 offset:136
	buffer_load_dword v26, off, s[0:3], 0 offset:140
	buffer_load_dword v27, off, s[0:3], 0 offset:144
	buffer_load_dword v25, off, s[0:3], 0 offset:148
	v_mov_b32_e32 v9, 0
	s_clause 0x5
	buffer_load_dword v24, off, s[0:3], 0 offset:152
	buffer_load_dword v48, off, s[0:3], 0 offset:156
	buffer_load_dword v13, off, s[0:3], 0 offset:160
	buffer_load_dword v12, off, s[0:3], 0 offset:164
	buffer_load_dword v7, off, s[0:3], 0 offset:168
	buffer_load_dword v3, off, s[0:3], 0 offset:172
	v_lshlrev_b64 v[41:42], 2, v[8:9]
	v_add_nc_u32_e32 v8, s17, v8
	v_lshlrev_b64 v[43:44], 2, v[8:9]
	v_add_nc_u32_e32 v8, s17, v8
	v_add_co_u32 v41, vcc_lo, s20, v41
	v_add_co_ci_u32_e64 v42, null, s21, v42, vcc_lo
	v_lshlrev_b64 v[45:46], 2, v[8:9]
	v_add_nc_u32_e32 v8, s17, v8
	v_add_co_u32 v49, vcc_lo, s20, v43
	v_add_co_ci_u32_e64 v50, null, s21, v44, vcc_lo
	;; [unrolled: 4-line block ×7, first 2 shown]
	v_add_co_u32 v59, vcc_lo, s20, v43
	v_add_co_ci_u32_e64 v60, null, s21, v44, vcc_lo
	buffer_load_dword v43, off, s[0:3], 0 offset:180
	s_waitcnt vmcnt(40)
	v_mul_f32_e32 v47, 0.5, v16
	buffer_load_dword v16, off, s[0:3], 0 offset:176
	s_waitcnt vmcnt(40)
	v_mul_f32_e32 v40, 0.5, v40
	s_waitcnt vmcnt(37)
	v_mul_f32_e32 v37, 0.5, v37
	global_store_dword v[41:42], v47, off
	v_lshlrev_b64 v[41:42], 2, v[8:9]
	v_add_nc_u32_e32 v8, s17, v8
	global_store_dword v[49:50], v40, off
	v_mul_f32_e32 v40, 0.5, v15
	buffer_load_dword v15, off, s[0:3], 0 offset:184
	s_waitcnt vmcnt(36)
	v_mul_f32_e32 v30, 0.5, v30
	v_lshlrev_b64 v[49:50], 2, v[8:9]
	v_add_nc_u32_e32 v8, s17, v8
	global_store_dword v[45:46], v40, off
	v_mul_f32_e32 v40, 0.5, v17
	v_add_co_u32 v41, vcc_lo, s20, v41
	v_lshlrev_b64 v[44:45], 2, v[8:9]
	buffer_load_dword v17, off, s[0:3], 0 offset:188
	v_add_co_ci_u32_e64 v42, null, s21, v42, vcc_lo
	v_add_co_u32 v46, vcc_lo, s20, v49
	v_add_co_ci_u32_e64 v47, null, s21, v50, vcc_lo
	global_store_dword v[53:54], v40, off
	v_add_co_u32 v53, vcc_lo, s20, v44
	s_clause 0x1
	buffer_load_dword v44, off, s[0:3], 0 offset:192
	buffer_load_dword v40, off, s[0:3], 0 offset:200
	global_store_dword v[51:52], v37, off
	v_mul_f32_e32 v37, 0.5, v18
	buffer_load_dword v18, off, s[0:3], 0 offset:196
	v_add_co_ci_u32_e64 v54, null, s21, v45, vcc_lo
	buffer_load_dword v45, off, s[0:3], 0 offset:204
	v_add_nc_u32_e32 v8, s17, v8
	global_store_dword v[57:58], v37, off
	global_store_dword v[55:56], v30, off
	s_waitcnt vmcnt(40)
	v_mul_f32_e32 v22, 0.5, v22
	s_waitcnt vmcnt(39)
	v_mul_f32_e32 v20, 0.5, v20
	v_lshlrev_b64 v[49:50], 2, v[8:9]
	v_add_nc_u32_e32 v8, s17, v8
	s_waitcnt vmcnt(28)
	v_mul_f32_e32 v14, 0.5, v14
	global_store_dword v[59:60], v22, off
	buffer_load_dword v22, off, s[0:3], 0 offset:208
	global_store_dword v[41:42], v20, off
	v_lshlrev_b64 v[51:52], 2, v[8:9]
	v_add_nc_u32_e32 v8, s17, v8
	s_clause 0x1
	buffer_load_dword v41, off, s[0:3], 0 offset:212
	buffer_load_dword v42, off, s[0:3], 0 offset:224
	v_mul_f32_e32 v20, 0.5, v39
	v_add_co_u32 v49, vcc_lo, s20, v49
	v_lshlrev_b64 v[57:58], 2, v[8:9]
	v_add_nc_u32_e32 v8, s17, v8
	global_store_dword v[46:47], v20, off
	s_clause 0x1
	buffer_load_dword v46, off, s[0:3], 0 offset:216
	buffer_load_dword v47, off, s[0:3], 0 offset:228
	v_mul_f32_e32 v20, 0.5, v38
	v_lshlrev_b64 v[55:56], 2, v[8:9]
	v_add_nc_u32_e32 v8, s17, v8
	v_add_co_ci_u32_e64 v50, null, s21, v50, vcc_lo
	v_add_co_u32 v51, vcc_lo, s20, v51
	v_lshlrev_b64 v[59:60], 2, v[8:9]
	v_add_nc_u32_e32 v8, s17, v8
	v_add_co_ci_u32_e64 v52, null, s21, v52, vcc_lo
	v_add_co_u32 v57, vcc_lo, s20, v57
	v_lshlrev_b64 v[61:62], 2, v[8:9]
	v_add_nc_u32_e32 v8, s17, v8
	global_store_dword v[53:54], v20, off
	v_mul_f32_e32 v20, 0.5, v31
	v_add_co_ci_u32_e64 v58, null, s21, v58, vcc_lo
	v_lshlrev_b64 v[63:64], 2, v[8:9]
	v_add_nc_u32_e32 v8, s17, v8
	v_add_co_u32 v55, vcc_lo, s20, v55
	v_add_co_ci_u32_e64 v56, null, s21, v56, vcc_lo
	v_lshlrev_b64 v[37:38], 2, v[8:9]
	v_add_nc_u32_e32 v8, s17, v8
	v_add_co_u32 v59, vcc_lo, s20, v59
	global_store_dword v[49:50], v20, off
	v_mul_f32_e32 v20, 0.5, v36
	v_lshlrev_b64 v[49:50], 2, v[8:9]
	v_add_nc_u32_e32 v8, s17, v8
	v_add_co_ci_u32_e64 v60, null, s21, v60, vcc_lo
	v_add_co_u32 v61, vcc_lo, s20, v61
	v_add_co_ci_u32_e64 v62, null, s21, v62, vcc_lo
	v_add_co_u32 v53, vcc_lo, s20, v63
	buffer_load_dword v31, off, s[0:3], 0 offset:220
	v_add_co_ci_u32_e64 v54, null, s21, v64, vcc_lo
	v_add_co_u32 v63, vcc_lo, s20, v37
	global_store_dword v[51:52], v20, off
	v_lshlrev_b64 v[36:37], 2, v[8:9]
	v_add_nc_u32_e32 v8, s17, v8
	v_mul_f32_e32 v20, 0.5, v35
	v_add_co_ci_u32_e64 v64, null, s21, v38, vcc_lo
	v_add_co_u32 v49, vcc_lo, s20, v49
	global_store_dword v[57:58], v20, off
	v_lshlrev_b64 v[38:39], 2, v[8:9]
	v_add_nc_u32_e32 v8, s17, v8
	v_mul_f32_e32 v20, 0.5, v34
	v_add_co_ci_u32_e64 v50, null, s21, v50, vcc_lo
	v_add_co_u32 v51, vcc_lo, s20, v36
	global_store_dword v[55:56], v20, off
	v_lshlrev_b64 v[55:56], 2, v[8:9]
	v_add_nc_u32_e32 v8, s17, v8
	buffer_load_dword v35, off, s[0:3], 0 offset:232
	v_add_co_ci_u32_e64 v52, null, s21, v37, vcc_lo
	v_add_co_u32 v57, vcc_lo, s20, v38
	v_mul_f32_e32 v20, 0.5, v33
	buffer_load_dword v37, off, s[0:3], 0 offset:236
	v_lshlrev_b64 v[33:34], 2, v[8:9]
	v_add_nc_u32_e32 v8, s17, v8
	v_add_co_ci_u32_e64 v58, null, s21, v39, vcc_lo
	s_clause 0x2
	buffer_load_dword v39, off, s[0:3], 0 offset:240
	buffer_load_dword v36, off, s[0:3], 0 offset:244
	;; [unrolled: 1-line block ×3, first 2 shown]
	global_store_dword v[59:60], v20, off
	v_mul_f32_e32 v20, 0.5, v32
	v_lshlrev_b64 v[59:60], 2, v[8:9]
	v_add_nc_u32_e32 v8, s17, v8
	v_add_co_u32 v55, vcc_lo, s20, v55
	global_store_dword v[61:62], v20, off
	v_mul_f32_e32 v20, 0.5, v29
	v_lshlrev_b64 v[29:30], 2, v[8:9]
	v_add_nc_u32_e32 v8, s17, v8
	v_add_co_ci_u32_e64 v56, null, s21, v56, vcc_lo
	v_add_co_u32 v61, vcc_lo, s20, v33
	v_lshlrev_b64 v[32:33], 2, v[8:9]
	global_store_dword v[53:54], v20, off
	v_mul_f32_e32 v20, 0.5, v28
	v_add_co_ci_u32_e64 v62, null, s21, v34, vcc_lo
	v_add_co_u32 v53, vcc_lo, s20, v59
	v_add_co_ci_u32_e64 v54, null, s21, v60, vcc_lo
	v_add_co_u32 v59, vcc_lo, s20, v29
	global_store_dword v[63:64], v20, off
	v_add_co_ci_u32_e64 v60, null, s21, v30, vcc_lo
	v_add_co_u32 v63, vcc_lo, s20, v32
	v_add_co_ci_u32_e64 v64, null, s21, v33, vcc_lo
	s_clause 0x1
	buffer_load_dword v33, off, s[0:3], 0 offset:252
	buffer_load_dword v34, off, s[0:3], 0 offset:256
	s_waitcnt vmcnt(40)
	v_mul_f32_e32 v28, 0.5, v19
	global_store_dword v[49:50], v14, off
	s_waitcnt vmcnt(39)
	v_mul_f32_e32 v14, 0.5, v21
	v_add_nc_u32_e32 v8, s17, v8
	s_waitcnt vmcnt(38)
	v_mul_f32_e32 v6, 0.5, v6
	global_store_dword v[51:52], v28, off
	s_clause 0x2
	buffer_load_dword v30, off, s[0:3], 0 offset:260
	buffer_load_dword v28, off, s[0:3], 0 offset:264
	;; [unrolled: 1-line block ×3, first 2 shown]
	global_store_dword v[57:58], v14, off
	v_lshlrev_b64 v[19:20], 2, v[8:9]
	v_add_nc_u32_e32 v8, s17, v8
	global_store_dword v[55:56], v6, off
	s_waitcnt vmcnt(40)
	v_mul_f32_e32 v10, 0.5, v10
	s_waitcnt vmcnt(39)
	v_mul_f32_e32 v2, 0.5, v2
	;; [unrolled: 2-line block ×3, first 2 shown]
	v_lshlrev_b64 v[49:50], 2, v[8:9]
	v_add_nc_u32_e32 v8, s17, v8
	v_add_co_u32 v51, vcc_lo, s20, v19
	v_add_co_ci_u32_e64 v52, null, s21, v20, vcc_lo
	v_lshlrev_b64 v[57:58], 2, v[8:9]
	v_add_nc_u32_e32 v8, s17, v8
	s_clause 0x1
	buffer_load_dword v19, off, s[0:3], 0 offset:272
	buffer_load_dword v20, off, s[0:3], 0 offset:276
	global_store_dword v[61:62], v10, off
	global_store_dword v[53:54], v2, off
	s_clause 0x1
	buffer_load_dword v29, off, s[0:3], 0 offset:280
	buffer_load_dword v10, off, s[0:3], 0 offset:284
	v_lshlrev_b64 v[55:56], 2, v[8:9]
	v_add_nc_u32_e32 v8, s17, v8
	v_add_co_u32 v49, vcc_lo, s20, v49
	v_add_co_ci_u32_e64 v50, null, s21, v50, vcc_lo
	v_lshlrev_b64 v[61:62], 2, v[8:9]
	v_add_nc_u32_e32 v8, s17, v8
	v_add_co_u32 v57, vcc_lo, s20, v57
	s_waitcnt vmcnt(41)
	v_mul_f32_e32 v0, 0.5, v0
	v_add_co_ci_u32_e64 v58, null, s21, v58, vcc_lo
	v_lshlrev_b64 v[53:54], 2, v[8:9]
	v_add_co_u32 v55, vcc_lo, s20, v55
	s_waitcnt vmcnt(40)
	v_mul_f32_e32 v1, 0.5, v1
	s_waitcnt vmcnt(39)
	v_mul_f32_e32 v2, 0.5, v5
	v_add_co_ci_u32_e64 v56, null, s21, v56, vcc_lo
	global_store_dword v[59:60], v4, off
	v_add_co_u32 v59, vcc_lo, s20, v61
	s_waitcnt vmcnt(38)
	v_mul_f32_e32 v4, 0.5, v11
	v_add_nc_u32_e32 v8, s17, v8
	v_add_co_ci_u32_e64 v60, null, s21, v62, vcc_lo
	s_waitcnt vmcnt(37)
	v_mul_f32_e32 v6, 0.5, v23
	global_store_dword v[63:64], v0, off
	global_store_dword v[51:52], v1, off
	;; [unrolled: 1-line block ×4, first 2 shown]
	v_add_co_u32 v0, vcc_lo, s20, v53
	s_waitcnt vmcnt(36)
	v_mul_f32_e32 v11, 0.5, v26
	s_waitcnt vmcnt(35)
	v_mul_f32_e32 v14, 0.5, v27
	v_add_co_ci_u32_e64 v1, null, s21, v54, vcc_lo
	v_lshlrev_b64 v[4:5], 2, v[8:9]
	v_add_nc_u32_e32 v8, s17, v8
	buffer_load_dword v32, off, s[0:3], 0 offset:288
	global_store_dword v[55:56], v6, off
	global_store_dword v[59:60], v11, off
	;; [unrolled: 1-line block ×3, first 2 shown]
	s_clause 0x1
	buffer_load_dword v27, off, s[0:3], 0 offset:292
	buffer_load_dword v23, off, s[0:3], 0 offset:296
	v_lshlrev_b64 v[0:1], 2, v[8:9]
	v_add_nc_u32_e32 v8, s17, v8
	s_waitcnt vmcnt(37)
	v_mul_f32_e32 v2, 0.5, v25
	s_waitcnt vmcnt(36)
	v_mul_f32_e32 v6, 0.5, v24
	v_add_co_u32 v4, vcc_lo, s20, v4
	v_lshlrev_b64 v[24:25], 2, v[8:9]
	v_add_nc_u32_e32 v8, s17, v8
	v_add_co_ci_u32_e64 v5, null, s21, v5, vcc_lo
	v_add_co_u32 v0, vcc_lo, s20, v0
	v_add_co_ci_u32_e64 v1, null, s21, v1, vcc_lo
	s_waitcnt vmcnt(35)
	v_mul_f32_e32 v11, 0.5, v48
	v_add_co_u32 v48, vcc_lo, s20, v24
	v_add_co_ci_u32_e64 v49, null, s21, v25, vcc_lo
	v_lshlrev_b64 v[25:26], 2, v[8:9]
	v_add_nc_u32_e32 v8, s17, v8
	buffer_load_dword v24, off, s[0:3], 0 offset:300
	global_store_dword v[4:5], v2, off
	global_store_dword v[0:1], v6, off
	;; [unrolled: 1-line block ×3, first 2 shown]
	s_waitcnt vmcnt(35)
	v_mul_f32_e32 v2, 0.5, v13
	s_waitcnt vmcnt(34)
	v_mul_f32_e32 v14, 0.5, v12
	v_lshlrev_b64 v[0:1], 2, v[8:9]
	v_add_nc_u32_e32 v8, s17, v8
	v_add_co_u32 v4, vcc_lo, s20, v25
	v_add_co_ci_u32_e64 v5, null, s21, v26, vcc_lo
	v_lshlrev_b64 v[12:13], 2, v[8:9]
	v_add_nc_u32_e32 v8, s17, v8
	s_clause 0x2
	buffer_load_dword v11, off, s[0:3], 0 offset:304
	buffer_load_dword v25, off, s[0:3], 0 offset:308
	;; [unrolled: 1-line block ×3, first 2 shown]
	v_add_co_u32 v0, vcc_lo, s20, v0
	v_add_co_ci_u32_e64 v1, null, s21, v1, vcc_lo
	v_add_co_u32 v6, vcc_lo, s20, v12
	s_waitcnt vmcnt(36)
	v_mul_f32_e32 v48, 0.5, v7
	v_add_co_ci_u32_e64 v7, null, s21, v13, vcc_lo
	v_lshlrev_b64 v[12:13], 2, v[8:9]
	v_add_nc_u32_e32 v8, s17, v8
	global_store_dword v[4:5], v2, off
	global_store_dword v[0:1], v14, off
	;; [unrolled: 1-line block ×3, first 2 shown]
	s_waitcnt vmcnt(35)
	v_mul_f32_e32 v48, 0.5, v3
	buffer_load_dword v14, off, s[0:3], 0 offset:324
	s_waitcnt vmcnt(35)
	v_mul_f32_e32 v43, 0.5, v43
	v_add_co_u32 v2, vcc_lo, s20, v12
	v_lshlrev_b64 v[0:1], 2, v[8:9]
	v_add_nc_u32_e32 v8, s17, v8
	v_add_co_ci_u32_e64 v3, null, s21, v13, vcc_lo
	s_clause 0x1
	buffer_load_dword v12, off, s[0:3], 0 offset:316
	buffer_load_dword v13, off, s[0:3], 0 offset:320
	v_lshlrev_b64 v[4:5], 2, v[8:9]
	v_add_nc_u32_e32 v8, s17, v8
	v_add_co_u32 v0, vcc_lo, s20, v0
	v_add_co_ci_u32_e64 v1, null, s21, v1, vcc_lo
	v_add_co_u32 v4, vcc_lo, s20, v4
	v_lshlrev_b64 v[6:7], 2, v[8:9]
	v_add_nc_u32_e32 v8, s17, v8
	v_add_co_ci_u32_e64 v5, null, s21, v5, vcc_lo
	s_waitcnt vmcnt(36)
	v_mul_f32_e32 v16, 0.5, v16
	global_store_dword v[2:3], v48, off
	global_store_dword v[0:1], v16, off
	;; [unrolled: 1-line block ×3, first 2 shown]
	v_lshlrev_b64 v[0:1], 2, v[8:9]
	v_add_nc_u32_e32 v8, s17, v8
	v_add_co_u32 v2, vcc_lo, s20, v6
	s_waitcnt vmcnt(35)
	v_mul_f32_e32 v43, 0.5, v15
	s_clause 0x1
	buffer_load_dword v15, off, s[0:3], 0 offset:328
	buffer_load_dword v16, off, s[0:3], 0 offset:332
	v_lshlrev_b64 v[4:5], 2, v[8:9]
	v_add_nc_u32_e32 v8, s17, v8
	v_add_co_ci_u32_e64 v3, null, s21, v7, vcc_lo
	v_add_co_u32 v0, vcc_lo, s20, v0
	s_waitcnt vmcnt(36)
	v_mul_f32_e32 v48, 0.5, v17
	buffer_load_dword v17, off, s[0:3], 0 offset:336
	v_add_co_ci_u32_e64 v1, null, s21, v1, vcc_lo
	v_add_co_u32 v4, vcc_lo, s20, v4
	v_lshlrev_b64 v[6:7], 2, v[8:9]
	v_add_nc_u32_e32 v8, s17, v8
	v_add_co_ci_u32_e64 v5, null, s21, v5, vcc_lo
	s_waitcnt vmcnt(36)
	v_mul_f32_e32 v44, 0.5, v44
	global_store_dword v[2:3], v43, off
	global_store_dword v[0:1], v48, off
	;; [unrolled: 1-line block ×3, first 2 shown]
	v_lshlrev_b64 v[2:3], 2, v[8:9]
	v_add_nc_u32_e32 v8, s17, v8
	buffer_load_dword v1, off, s[0:3], 0 offset:340
	v_add_co_u32 v4, vcc_lo, s20, v6
	v_add_co_ci_u32_e64 v5, null, s21, v7, vcc_lo
	v_lshlrev_b64 v[6:7], 2, v[8:9]
	v_add_nc_u32_e32 v8, s17, v8
	v_add_co_u32 v43, vcc_lo, s20, v2
	buffer_load_dword v2, off, s[0:3], 0 offset:344
	s_waitcnt vmcnt(36)
	v_mul_f32_e32 v0, 0.5, v18
	v_add_co_ci_u32_e64 v44, null, s21, v3, vcc_lo
	v_add_co_u32 v6, vcc_lo, s20, v6
	v_lshlrev_b64 v[48:49], 2, v[8:9]
	v_add_nc_u32_e32 v8, s17, v8
	v_mul_f32_e32 v18, 0.5, v40
	s_waitcnt vmcnt(35)
	v_mul_f32_e32 v40, 0.5, v45
	v_add_co_ci_u32_e64 v7, null, s21, v7, vcc_lo
	buffer_load_dword v3, off, s[0:3], 0 offset:348
	global_store_dword v[4:5], v0, off
	global_store_dword v[43:44], v18, off
	;; [unrolled: 1-line block ×3, first 2 shown]
	v_lshlrev_b64 v[5:6], 2, v[8:9]
	v_add_co_u32 v43, vcc_lo, s20, v48
	v_add_co_ci_u32_e64 v44, null, s21, v49, vcc_lo
	buffer_load_dword v4, off, s[0:3], 0 offset:352
	v_add_co_u32 v48, vcc_lo, s20, v5
	buffer_load_dword v5, off, s[0:3], 0 offset:356
	v_add_nc_u32_e32 v8, s17, v8
	s_waitcnt vmcnt(36)
	v_mul_f32_e32 v7, 0.5, v41
	v_add_co_ci_u32_e64 v49, null, s21, v6, vcc_lo
	buffer_load_dword v6, off, s[0:3], 0 offset:360
	v_lshlrev_b64 v[40:41], 2, v[8:9]
	v_add_nc_u32_e32 v8, s17, v8
	v_mul_f32_e32 v0, 0.5, v22
	s_waitcnt vmcnt(35)
	v_mul_f32_e32 v18, 0.5, v46
	v_add_co_u32 v40, vcc_lo, s20, v40
	v_lshlrev_b64 v[45:46], 2, v[8:9]
	v_add_nc_u32_e32 v8, s17, v8
	v_add_co_ci_u32_e64 v41, null, s21, v41, vcc_lo
	global_store_dword v[43:44], v0, off
	global_store_dword v[48:49], v7, off
	;; [unrolled: 1-line block ×3, first 2 shown]
	v_lshlrev_b64 v[40:41], 2, v[8:9]
	v_add_nc_u32_e32 v8, s17, v8
	s_clause 0x2
	buffer_load_dword v0, off, s[0:3], 0 offset:364
	buffer_load_dword v7, off, s[0:3], 0 offset:368
	;; [unrolled: 1-line block ×3, first 2 shown]
	v_add_co_u32 v43, vcc_lo, s20, v45
	v_add_co_ci_u32_e64 v44, null, s21, v46, vcc_lo
	v_lshlrev_b64 v[45:46], 2, v[8:9]
	v_add_nc_u32_e32 v8, s17, v8
	v_add_co_u32 v40, vcc_lo, s20, v40
	v_add_co_ci_u32_e64 v41, null, s21, v41, vcc_lo
	s_waitcnt vmcnt(36)
	v_mul_f32_e32 v22, 0.5, v31
	v_mul_f32_e32 v31, 0.5, v42
	;; [unrolled: 1-line block ×3, first 2 shown]
	v_add_co_u32 v45, vcc_lo, s20, v45
	v_lshlrev_b64 v[47:48], 2, v[8:9]
	v_add_nc_u32_e32 v8, s17, v8
	v_add_co_ci_u32_e64 v46, null, s21, v46, vcc_lo
	global_store_dword v[43:44], v22, off
	global_store_dword v[40:41], v31, off
	;; [unrolled: 1-line block ×3, first 2 shown]
	v_lshlrev_b64 v[40:41], 2, v[8:9]
	v_add_nc_u32_e32 v8, s17, v8
	s_clause 0x1
	buffer_load_dword v22, off, s[0:3], 0 offset:376
	buffer_load_dword v31, off, s[0:3], 0 offset:380
	v_add_co_u32 v42, vcc_lo, s20, v47
	v_lshlrev_b64 v[44:45], 2, v[8:9]
	v_add_nc_u32_e32 v8, s17, v8
	v_add_co_ci_u32_e64 v43, null, s21, v48, vcc_lo
	v_add_co_u32 v40, vcc_lo, s20, v40
	v_add_co_ci_u32_e64 v41, null, s21, v41, vcc_lo
	s_waitcnt vmcnt(37)
	v_mul_f32_e32 v49, 0.5, v35
	buffer_load_dword v35, off, s[0:3], 0 offset:384
	v_add_co_u32 v44, vcc_lo, s20, v44
	v_lshlrev_b64 v[46:47], 2, v[8:9]
	v_add_nc_u32_e32 v8, s17, v8
	s_waitcnt vmcnt(37)
	v_mul_f32_e32 v37, 0.5, v37
	v_add_co_ci_u32_e64 v45, null, s21, v45, vcc_lo
	s_waitcnt vmcnt(36)
	v_mul_f32_e32 v39, 0.5, v39
	global_store_dword v[42:43], v49, off
	global_store_dword v[40:41], v37, off
	;; [unrolled: 1-line block ×3, first 2 shown]
	v_lshlrev_b64 v[39:40], 2, v[8:9]
	v_add_nc_u32_e32 v8, s17, v8
	v_add_co_u32 v41, vcc_lo, s20, v46
	s_waitcnt vmcnt(35)
	v_mul_f32_e32 v45, 0.5, v36
	s_clause 0x1
	buffer_load_dword v36, off, s[0:3], 0 offset:388
	buffer_load_dword v37, off, s[0:3], 0 offset:392
	v_add_co_ci_u32_e64 v42, null, s21, v47, vcc_lo
	v_add_co_u32 v39, vcc_lo, s20, v39
	v_lshlrev_b64 v[43:44], 2, v[8:9]
	v_add_nc_u32_e32 v8, s17, v8
	s_waitcnt vmcnt(36)
	v_mul_f32_e32 v46, 0.5, v38
	v_add_co_ci_u32_e64 v40, null, s21, v40, vcc_lo
	buffer_load_dword v38, off, s[0:3], 0 offset:396
	global_store_dword v[41:42], v45, off
	global_store_dword v[39:40], v46, off
	v_lshlrev_b64 v[39:40], 2, v[8:9]
	v_add_co_u32 v41, vcc_lo, s20, v43
	v_add_nc_u32_e32 v8, s17, v8
	v_add_co_ci_u32_e64 v42, null, s21, v44, vcc_lo
	v_add_co_u32 v39, vcc_lo, s20, v39
	v_add_co_ci_u32_e64 v40, null, s21, v40, vcc_lo
	v_lshlrev_b64 v[43:44], 2, v[8:9]
	s_waitcnt vmcnt(36)
	v_mul_f32_e32 v45, 0.5, v33
	s_waitcnt vmcnt(35)
	v_mul_f32_e32 v46, 0.5, v34
	s_clause 0x1
	buffer_load_dword v33, off, s[0:3], 0 offset:400
	buffer_load_dword v34, off, s[0:3], 0 offset:404
	v_add_nc_u32_e32 v8, s17, v8
	global_store_dword v[41:42], v45, off
	global_store_dword v[39:40], v46, off
	s_waitcnt vmcnt(36)
	v_mul_f32_e32 v45, 0.5, v30
	buffer_load_dword v30, off, s[0:3], 0 offset:408
	v_add_co_u32 v41, vcc_lo, s20, v43
	v_lshlrev_b64 v[39:40], 2, v[8:9]
	v_add_nc_u32_e32 v8, s17, v8
	v_add_co_ci_u32_e64 v42, null, s21, v44, vcc_lo
	s_waitcnt vmcnt(36)
	v_mul_f32_e32 v46, 0.5, v28
	buffer_load_dword v28, off, s[0:3], 0 offset:412
	v_lshlrev_b64 v[43:44], 2, v[8:9]
	v_add_co_u32 v39, vcc_lo, s20, v39
	s_waitcnt vmcnt(36)
	v_mul_f32_e32 v47, 0.5, v21
	buffer_load_dword v21, off, s[0:3], 0 offset:416
	v_add_co_ci_u32_e64 v40, null, s21, v40, vcc_lo
	v_add_co_u32 v43, vcc_lo, s20, v43
	v_add_co_ci_u32_e64 v44, null, s21, v44, vcc_lo
	v_add_nc_u32_e32 v8, s17, v8
	global_store_dword v[41:42], v45, off
	global_store_dword v[39:40], v46, off
	;; [unrolled: 1-line block ×3, first 2 shown]
	buffer_load_dword v39, off, s[0:3], 0 offset:420
	s_waitcnt vmcnt(37)
	v_mul_f32_e32 v48, 0.5, v19
	v_lshlrev_b64 v[41:42], 2, v[8:9]
	v_add_nc_u32_e32 v8, s17, v8
	s_waitcnt vmcnt(36)
	v_mul_f32_e32 v49, 0.5, v20
	s_clause 0x1
	buffer_load_dword v19, off, s[0:3], 0 offset:424
	buffer_load_dword v20, off, s[0:3], 0 offset:428
	s_waitcnt vmcnt(37)
	v_mul_f32_e32 v50, 0.5, v29
	v_lshlrev_b64 v[43:44], 2, v[8:9]
	v_add_nc_u32_e32 v8, s17, v8
	buffer_load_dword v29, off, s[0:3], 0 offset:432
	v_add_co_u32 v40, vcc_lo, s20, v41
	v_add_co_ci_u32_e64 v41, null, s21, v42, vcc_lo
	v_lshlrev_b64 v[45:46], 2, v[8:9]
	v_add_nc_u32_e32 v8, s17, v8
	v_add_co_u32 v42, vcc_lo, s20, v43
	v_add_co_ci_u32_e64 v43, null, s21, v44, vcc_lo
	v_add_co_u32 v44, vcc_lo, s20, v45
	v_add_co_ci_u32_e64 v45, null, s21, v46, vcc_lo
	v_lshlrev_b64 v[46:47], 2, v[8:9]
	v_add_nc_u32_e32 v8, s17, v8
	global_store_dword v[40:41], v48, off
	global_store_dword v[42:43], v49, off
	;; [unrolled: 1-line block ×3, first 2 shown]
	s_waitcnt vmcnt(37)
	v_mul_f32_e32 v48, 0.5, v10
	buffer_load_dword v10, off, s[0:3], 0 offset:436
	v_lshlrev_b64 v[40:41], 2, v[8:9]
	v_add_nc_u32_e32 v8, s17, v8
	v_add_co_u32 v42, vcc_lo, s20, v46
	s_waitcnt vmcnt(37)
	v_mul_f32_e32 v49, 0.5, v32
	buffer_load_dword v32, off, s[0:3], 0 offset:440
	s_waitcnt vmcnt(37)
	v_mul_f32_e32 v50, 0.5, v27
	buffer_load_dword v27, off, s[0:3], 0 offset:444
	v_lshlrev_b64 v[44:45], 2, v[8:9]
	v_add_nc_u32_e32 v8, s17, v8
	v_add_co_ci_u32_e64 v43, null, s21, v47, vcc_lo
	v_add_co_u32 v40, vcc_lo, s20, v40
	v_add_co_ci_u32_e64 v41, null, s21, v41, vcc_lo
	v_add_co_u32 v44, vcc_lo, s20, v44
	v_lshlrev_b64 v[46:47], 2, v[8:9]
	v_add_nc_u32_e32 v8, s17, v8
	v_add_co_ci_u32_e64 v45, null, s21, v45, vcc_lo
	global_store_dword v[42:43], v48, off
	global_store_dword v[40:41], v49, off
	;; [unrolled: 1-line block ×3, first 2 shown]
	v_lshlrev_b64 v[40:41], 2, v[8:9]
	v_add_nc_u32_e32 v8, s17, v8
	s_waitcnt vmcnt(37)
	v_mul_f32_e32 v48, 0.5, v23
	buffer_load_dword v23, off, s[0:3], 0 offset:448
	v_add_co_u32 v42, vcc_lo, s20, v46
	s_waitcnt vmcnt(37)
	v_mul_f32_e32 v49, 0.5, v24
	buffer_load_dword v24, off, s[0:3], 0 offset:452
	v_add_co_ci_u32_e64 v43, null, s21, v47, vcc_lo
	v_add_co_u32 v44, vcc_lo, s20, v40
	buffer_load_dword v40, off, s[0:3], 0 offset:456
	v_lshlrev_b64 v[46:47], 2, v[8:9]
	v_add_nc_u32_e32 v8, s17, v8
	v_add_co_ci_u32_e64 v45, null, s21, v41, vcc_lo
	global_store_dword v[42:43], v48, off
	s_waitcnt vmcnt(37)
	v_mul_f32_e32 v50, 0.5, v25
	v_lshlrev_b64 v[41:42], 2, v[8:9]
	v_add_nc_u32_e32 v8, s17, v8
	global_store_dword v[44:45], v49, off
	v_add_co_u32 v43, vcc_lo, s20, v46
	v_mul_f32_e32 v49, 0.5, v11
	v_lshlrev_b64 v[45:46], 2, v[8:9]
	s_clause 0x1
	buffer_load_dword v11, off, s[0:3], 0 offset:460
	buffer_load_dword v25, off, s[0:3], 0 offset:464
	v_add_nc_u32_e32 v8, s17, v8
	v_add_co_ci_u32_e64 v44, null, s21, v47, vcc_lo
	v_add_co_u32 v41, vcc_lo, s20, v41
	s_waitcnt vmcnt(38)
	v_mul_f32_e32 v51, 0.5, v26
	buffer_load_dword v26, off, s[0:3], 0 offset:468
	v_add_co_ci_u32_e64 v42, null, s21, v42, vcc_lo
	v_add_co_u32 v45, vcc_lo, s20, v45
	v_lshlrev_b64 v[47:48], 2, v[8:9]
	v_add_nc_u32_e32 v8, s17, v8
	v_add_co_ci_u32_e64 v46, null, s21, v46, vcc_lo
	global_store_dword v[43:44], v49, off
	global_store_dword v[41:42], v50, off
	;; [unrolled: 1-line block ×3, first 2 shown]
	v_lshlrev_b64 v[41:42], 2, v[8:9]
	v_add_nc_u32_e32 v8, s17, v8
	s_waitcnt vmcnt(37)
	v_mul_f32_e32 v49, 0.5, v12
	buffer_load_dword v12, off, s[0:3], 0 offset:472
	s_waitcnt vmcnt(37)
	v_mul_f32_e32 v50, 0.5, v13
	buffer_load_dword v13, off, s[0:3], 0 offset:476
	v_lshlrev_b64 v[45:46], 2, v[8:9]
	v_add_nc_u32_e32 v8, s17, v8
	v_add_co_u32 v43, vcc_lo, s20, v47
	v_add_co_ci_u32_e64 v44, null, s21, v48, vcc_lo
	v_add_co_u32 v41, vcc_lo, s20, v41
	v_mul_f32_e32 v51, 0.5, v14
	buffer_load_dword v14, off, s[0:3], 0 offset:480
	v_add_co_ci_u32_e64 v42, null, s21, v42, vcc_lo
	v_add_co_u32 v45, vcc_lo, s20, v45
	v_lshlrev_b64 v[47:48], 2, v[8:9]
	v_add_nc_u32_e32 v8, s17, v8
	v_add_co_ci_u32_e64 v46, null, s21, v46, vcc_lo
	global_store_dword v[43:44], v49, off
	global_store_dword v[41:42], v50, off
	;; [unrolled: 1-line block ×3, first 2 shown]
	v_lshlrev_b64 v[41:42], 2, v[8:9]
	v_add_nc_u32_e32 v8, s17, v8
	v_add_co_u32 v43, vcc_lo, s20, v47
	v_add_co_ci_u32_e64 v44, null, s21, v48, vcc_lo
	v_lshlrev_b64 v[45:46], 2, v[8:9]
	s_waitcnt vmcnt(38)
	v_mul_f32_e32 v49, 0.5, v15
	buffer_load_dword v15, off, s[0:3], 0 offset:484
	s_waitcnt vmcnt(38)
	v_mul_f32_e32 v47, 0.5, v16
	buffer_load_dword v16, off, s[0:3], 0 offset:488
	v_add_co_u32 v41, vcc_lo, s20, v41
	v_add_co_ci_u32_e64 v42, null, s21, v42, vcc_lo
	s_waitcnt vmcnt(38)
	v_mul_f32_e32 v48, 0.5, v17
	buffer_load_dword v17, off, s[0:3], 0 offset:492
	v_add_co_u32 v45, vcc_lo, s20, v45
	v_add_nc_u32_e32 v8, s17, v8
	v_add_co_ci_u32_e64 v46, null, s21, v46, vcc_lo
	global_store_dword v[43:44], v49, off
	global_store_dword v[41:42], v47, off
	;; [unrolled: 1-line block ×3, first 2 shown]
	v_lshlrev_b64 v[43:44], 2, v[8:9]
	v_add_nc_u32_e32 v8, s17, v8
	buffer_load_dword v41, off, s[0:3], 0 offset:496
	s_waitcnt vmcnt(39)
	v_mul_f32_e32 v50, 0.5, v1
	buffer_load_dword v1, off, s[0:3], 0 offset:500
	v_lshlrev_b64 v[45:46], 2, v[8:9]
	v_add_nc_u32_e32 v8, s17, v8
	v_add_co_u32 v42, vcc_lo, s20, v43
	v_add_co_ci_u32_e64 v43, null, s21, v44, vcc_lo
	v_lshlrev_b64 v[47:48], 2, v[8:9]
	s_waitcnt vmcnt(39)
	v_mul_f32_e32 v51, 0.5, v2
	buffer_load_dword v2, off, s[0:3], 0 offset:504
	v_add_co_u32 v44, vcc_lo, s20, v45
	v_add_co_ci_u32_e64 v45, null, s21, v46, vcc_lo
	v_add_co_u32 v46, vcc_lo, s20, v47
	v_add_co_ci_u32_e64 v47, null, s21, v48, vcc_lo
	v_add_nc_u32_e32 v8, s17, v8
	s_waitcnt vmcnt(39)
	v_mul_f32_e32 v52, 0.5, v3
	buffer_load_dword v3, off, s[0:3], 0 offset:508
	global_store_dword v[42:43], v50, off
	global_store_dword v[44:45], v51, off
	;; [unrolled: 1-line block ×3, first 2 shown]
	s_clause 0x1
	buffer_load_dword v52, off, s[0:3], 0 offset:520
	buffer_load_dword v53, off, s[0:3], 0 offset:524
	v_lshlrev_b64 v[48:49], 2, v[8:9]
	s_waitcnt vmcnt(41)
	v_mul_f32_e32 v50, 0.5, v4
	buffer_load_dword v4, off, s[0:3], 0 offset:512
	v_add_nc_u32_e32 v8, s17, v8
	s_waitcnt vmcnt(41)
	v_mul_f32_e32 v51, 0.5, v5
	buffer_load_dword v5, off, s[0:3], 0 offset:516
	v_add_co_u32 v44, vcc_lo, s20, v48
	v_lshlrev_b64 v[42:43], 2, v[8:9]
	v_add_nc_u32_e32 v8, s17, v8
	v_add_co_ci_u32_e64 v45, null, s21, v49, vcc_lo
	s_waitcnt vmcnt(41)
	v_mul_f32_e32 v6, 0.5, v6
	v_lshlrev_b64 v[46:47], 2, v[8:9]
	v_add_nc_u32_e32 v8, s17, v8
	v_add_co_u32 v42, vcc_lo, s20, v42
	v_add_co_ci_u32_e64 v43, null, s21, v43, vcc_lo
	v_add_co_u32 v46, vcc_lo, s20, v46
	v_lshlrev_b64 v[48:49], 2, v[8:9]
	v_add_nc_u32_e32 v8, s17, v8
	v_add_co_ci_u32_e64 v47, null, s21, v47, vcc_lo
	global_store_dword v[44:45], v50, off
	global_store_dword v[42:43], v51, off
	;; [unrolled: 1-line block ×3, first 2 shown]
	v_lshlrev_b64 v[42:43], 2, v[8:9]
	v_add_nc_u32_e32 v8, s17, v8
	v_add_co_u32 v44, vcc_lo, s20, v48
	s_waitcnt vmcnt(39)
	v_mul_f32_e32 v48, 0.5, v7
	v_add_co_ci_u32_e64 v45, null, s21, v49, vcc_lo
	v_lshlrev_b64 v[6:7], 2, v[8:9]
	v_add_nc_u32_e32 v8, s17, v8
	v_add_co_u32 v42, vcc_lo, s20, v42
	v_mul_f32_e32 v0, 0.5, v0
	v_add_co_ci_u32_e64 v43, null, s21, v43, vcc_lo
	v_add_co_u32 v6, vcc_lo, s20, v6
	v_lshlrev_b64 v[46:47], 2, v[8:9]
	v_add_nc_u32_e32 v8, s17, v8
	s_waitcnt vmcnt(38)
	v_mul_f32_e32 v18, 0.5, v18
	v_add_co_ci_u32_e64 v7, null, s21, v7, vcc_lo
	global_store_dword v[44:45], v0, off
	global_store_dword v[42:43], v48, off
	;; [unrolled: 1-line block ×3, first 2 shown]
	v_lshlrev_b64 v[6:7], 2, v[8:9]
	v_add_nc_u32_e32 v8, s17, v8
	v_add_co_u32 v42, vcc_lo, s20, v46
	v_add_co_ci_u32_e64 v43, null, s21, v47, vcc_lo
	v_lshlrev_b64 v[44:45], 2, v[8:9]
	v_add_nc_u32_e32 v8, s17, v8
	v_add_co_u32 v6, vcc_lo, s20, v6
	s_waitcnt vmcnt(37)
	v_mul_f32_e32 v0, 0.5, v22
	v_add_co_ci_u32_e64 v7, null, s21, v7, vcc_lo
	v_add_co_u32 v44, vcc_lo, s20, v44
	v_lshlrev_b64 v[46:47], 2, v[8:9]
	v_add_nc_u32_e32 v8, s17, v8
	s_waitcnt vmcnt(36)
	v_mul_f32_e32 v18, 0.5, v31
	s_waitcnt vmcnt(35)
	v_mul_f32_e32 v22, 0.5, v35
	v_add_co_ci_u32_e64 v45, null, s21, v45, vcc_lo
	global_store_dword v[42:43], v0, off
	global_store_dword v[6:7], v18, off
	;; [unrolled: 1-line block ×3, first 2 shown]
	v_lshlrev_b64 v[6:7], 2, v[8:9]
	v_add_nc_u32_e32 v8, s17, v8
	v_add_co_u32 v35, vcc_lo, s20, v46
	v_lshlrev_b64 v[42:43], 2, v[8:9]
	v_add_nc_u32_e32 v8, s17, v8
	s_waitcnt vmcnt(34)
	v_mul_f32_e32 v0, 0.5, v36
	v_add_co_ci_u32_e64 v36, null, s21, v47, vcc_lo
	v_add_co_u32 v6, vcc_lo, s20, v6
	s_waitcnt vmcnt(33)
	v_mul_f32_e32 v18, 0.5, v37
	v_add_co_ci_u32_e64 v7, null, s21, v7, vcc_lo
	v_add_co_u32 v37, vcc_lo, s20, v42
	s_waitcnt vmcnt(32)
	v_mul_f32_e32 v22, 0.5, v38
	v_add_co_ci_u32_e64 v38, null, s21, v43, vcc_lo
	v_lshlrev_b64 v[42:43], 2, v[8:9]
	v_add_nc_u32_e32 v8, s17, v8
	global_store_dword v[35:36], v0, off
	global_store_dword v[6:7], v18, off
	;; [unrolled: 1-line block ×3, first 2 shown]
	v_lshlrev_b64 v[6:7], 2, v[8:9]
	v_add_nc_u32_e32 v8, s17, v8
	v_add_co_u32 v35, vcc_lo, s20, v42
	v_add_co_ci_u32_e64 v36, null, s21, v43, vcc_lo
	v_add_co_u32 v6, vcc_lo, s20, v6
	s_waitcnt vmcnt(31)
	v_mul_f32_e32 v0, 0.5, v33
	s_waitcnt vmcnt(30)
	v_mul_f32_e32 v18, 0.5, v34
	v_lshlrev_b64 v[33:34], 2, v[8:9]
	v_add_nc_u32_e32 v8, s17, v8
	v_add_co_ci_u32_e64 v7, null, s21, v7, vcc_lo
	s_waitcnt vmcnt(29)
	v_mul_f32_e32 v22, 0.5, v30
	v_add_co_u32 v30, vcc_lo, s20, v33
	v_add_co_ci_u32_e64 v31, null, s21, v34, vcc_lo
	v_lshlrev_b64 v[33:34], 2, v[8:9]
	v_add_nc_u32_e32 v8, s17, v8
	global_store_dword v[35:36], v0, off
	global_store_dword v[6:7], v18, off
	;; [unrolled: 1-line block ×3, first 2 shown]
	s_waitcnt vmcnt(28)
	v_mul_f32_e32 v0, 0.5, v28
	s_waitcnt vmcnt(27)
	v_mul_f32_e32 v18, 0.5, v21
	v_lshlrev_b64 v[6:7], 2, v[8:9]
	v_add_nc_u32_e32 v8, s17, v8
	v_add_co_u32 v30, vcc_lo, s20, v33
	v_add_co_ci_u32_e64 v31, null, s21, v34, vcc_lo
	v_lshlrev_b64 v[21:22], 2, v[8:9]
	v_add_nc_u32_e32 v8, s17, v8
	v_add_co_u32 v6, vcc_lo, s20, v6
	v_add_co_ci_u32_e64 v7, null, s21, v7, vcc_lo
	v_add_co_u32 v21, vcc_lo, s20, v21
	v_lshlrev_b64 v[33:34], 2, v[8:9]
	v_add_nc_u32_e32 v8, s17, v8
	s_waitcnt vmcnt(26)
	v_mul_f32_e32 v28, 0.5, v39
	v_add_co_ci_u32_e64 v22, null, s21, v22, vcc_lo
	global_store_dword v[30:31], v0, off
	global_store_dword v[6:7], v18, off
	;; [unrolled: 1-line block ×3, first 2 shown]
	v_lshlrev_b64 v[6:7], 2, v[8:9]
	v_add_nc_u32_e32 v8, s17, v8
	s_waitcnt vmcnt(24)
	v_mul_f32_e32 v22, 0.5, v20
	v_add_co_u32 v18, vcc_lo, s20, v33
	v_mul_f32_e32 v0, 0.5, v19
	v_lshlrev_b64 v[20:21], 2, v[8:9]
	v_add_nc_u32_e32 v8, s17, v8
	v_add_co_ci_u32_e64 v19, null, s21, v34, vcc_lo
	v_add_co_u32 v6, vcc_lo, s20, v6
	v_add_co_ci_u32_e64 v7, null, s21, v7, vcc_lo
	s_waitcnt vmcnt(23)
	v_mul_f32_e32 v30, 0.5, v29
	v_add_co_u32 v20, vcc_lo, s20, v20
	v_lshlrev_b64 v[28:29], 2, v[8:9]
	v_add_nc_u32_e32 v8, s17, v8
	v_add_co_ci_u32_e64 v21, null, s21, v21, vcc_lo
	global_store_dword v[18:19], v0, off
	global_store_dword v[6:7], v22, off
	;; [unrolled: 1-line block ×3, first 2 shown]
	v_lshlrev_b64 v[6:7], 2, v[8:9]
	v_add_nc_u32_e32 v8, s17, v8
	v_add_co_u32 v18, vcc_lo, s20, v28
	v_add_co_ci_u32_e64 v19, null, s21, v29, vcc_lo
	v_lshlrev_b64 v[20:21], 2, v[8:9]
	v_add_nc_u32_e32 v8, s17, v8
	v_add_co_u32 v6, vcc_lo, s20, v6
	s_waitcnt vmcnt(22)
	v_mul_f32_e32 v0, 0.5, v10
	v_add_co_ci_u32_e64 v7, null, s21, v7, vcc_lo
	s_waitcnt vmcnt(20)
	v_mul_f32_e32 v22, 0.5, v27
	v_add_co_u32 v20, vcc_lo, s20, v20
	v_lshlrev_b64 v[27:28], 2, v[8:9]
	v_add_nc_u32_e32 v8, s17, v8
	v_mul_f32_e32 v10, 0.5, v32
	v_add_co_ci_u32_e64 v21, null, s21, v21, vcc_lo
	global_store_dword v[18:19], v0, off
	global_store_dword v[6:7], v10, off
	;; [unrolled: 1-line block ×3, first 2 shown]
	v_lshlrev_b64 v[6:7], 2, v[8:9]
	v_add_nc_u32_e32 v8, s17, v8
	v_add_co_u32 v18, vcc_lo, s20, v27
	v_add_co_ci_u32_e64 v19, null, s21, v28, vcc_lo
	v_lshlrev_b64 v[20:21], 2, v[8:9]
	v_add_nc_u32_e32 v8, s17, v8
	v_add_co_u32 v6, vcc_lo, s20, v6
	s_waitcnt vmcnt(19)
	v_mul_f32_e32 v0, 0.5, v23
	v_add_co_ci_u32_e64 v7, null, s21, v7, vcc_lo
	v_add_co_u32 v20, vcc_lo, s20, v20
	v_lshlrev_b64 v[22:23], 2, v[8:9]
	v_add_nc_u32_e32 v8, s17, v8
	s_waitcnt vmcnt(18)
	v_mul_f32_e32 v10, 0.5, v24
	s_waitcnt vmcnt(17)
	v_mul_f32_e32 v24, 0.5, v40
	v_add_co_ci_u32_e64 v21, null, s21, v21, vcc_lo
	global_store_dword v[18:19], v0, off
	global_store_dword v[6:7], v10, off
	;; [unrolled: 1-line block ×3, first 2 shown]
	v_lshlrev_b64 v[6:7], 2, v[8:9]
	v_add_nc_u32_e32 v8, s17, v8
	v_add_co_u32 v10, vcc_lo, s20, v22
	s_waitcnt vmcnt(16)
	v_mul_f32_e32 v0, 0.5, v11
	v_add_co_ci_u32_e64 v11, null, s21, v23, vcc_lo
	v_lshlrev_b64 v[18:19], 2, v[8:9]
	v_add_nc_u32_e32 v8, s17, v8
	v_add_co_u32 v6, vcc_lo, s20, v6
	v_add_co_ci_u32_e64 v7, null, s21, v7, vcc_lo
	v_add_co_u32 v18, vcc_lo, s20, v18
	v_lshlrev_b64 v[20:21], 2, v[8:9]
	v_add_nc_u32_e32 v8, s17, v8
	s_waitcnt vmcnt(15)
	v_mul_f32_e32 v22, 0.5, v25
	s_waitcnt vmcnt(14)
	v_mul_f32_e32 v23, 0.5, v26
	v_add_co_ci_u32_e64 v19, null, s21, v19, vcc_lo
	global_store_dword v[10:11], v0, off
	global_store_dword v[6:7], v22, off
	;; [unrolled: 1-line block ×3, first 2 shown]
	v_lshlrev_b64 v[6:7], 2, v[8:9]
	v_add_nc_u32_e32 v8, s17, v8
	s_waitcnt vmcnt(13)
	v_mul_f32_e32 v0, 0.5, v12
	v_add_co_u32 v10, vcc_lo, s20, v20
	s_waitcnt vmcnt(12)
	v_mul_f32_e32 v20, 0.5, v13
	v_lshlrev_b64 v[12:13], 2, v[8:9]
	v_add_nc_u32_e32 v8, s17, v8
	v_add_co_ci_u32_e64 v11, null, s21, v21, vcc_lo
	v_add_co_u32 v6, vcc_lo, s20, v6
	v_add_co_ci_u32_e64 v7, null, s21, v7, vcc_lo
	v_add_co_u32 v12, vcc_lo, s20, v12
	v_lshlrev_b64 v[18:19], 2, v[8:9]
	v_add_nc_u32_e32 v8, s17, v8
	s_waitcnt vmcnt(11)
	v_mul_f32_e32 v14, 0.5, v14
	v_add_co_ci_u32_e64 v13, null, s21, v13, vcc_lo
	global_store_dword v[10:11], v0, off
	global_store_dword v[6:7], v20, off
	;; [unrolled: 1-line block ×3, first 2 shown]
	v_lshlrev_b64 v[6:7], 2, v[8:9]
	v_add_nc_u32_e32 v8, s17, v8
	v_add_co_u32 v10, vcc_lo, s20, v18
	v_add_co_ci_u32_e64 v11, null, s21, v19, vcc_lo
	v_lshlrev_b64 v[12:13], 2, v[8:9]
	v_add_nc_u32_e32 v8, s17, v8
	v_add_co_u32 v6, vcc_lo, s20, v6
	s_waitcnt vmcnt(10)
	v_mul_f32_e32 v0, 0.5, v15
	v_add_co_ci_u32_e64 v7, null, s21, v7, vcc_lo
	v_add_co_u32 v12, vcc_lo, s20, v12
	v_lshlrev_b64 v[14:15], 2, v[8:9]
	v_add_nc_u32_e32 v8, s17, v8
	s_waitcnt vmcnt(9)
	v_mul_f32_e32 v16, 0.5, v16
	s_waitcnt vmcnt(8)
	v_mul_f32_e32 v17, 0.5, v17
	v_add_co_ci_u32_e64 v13, null, s21, v13, vcc_lo
	global_store_dword v[10:11], v0, off
	global_store_dword v[6:7], v16, off
	;; [unrolled: 1-line block ×3, first 2 shown]
	v_lshlrev_b64 v[6:7], 2, v[8:9]
	v_add_nc_u32_e32 v8, s17, v8
	v_add_co_u32 v10, vcc_lo, s20, v14
	v_add_co_ci_u32_e64 v11, null, s21, v15, vcc_lo
	s_waitcnt vmcnt(6)
	v_mul_f32_e32 v14, 0.5, v1
	v_lshlrev_b64 v[0:1], 2, v[8:9]
	v_add_nc_u32_e32 v8, s17, v8
	v_add_co_u32 v6, vcc_lo, s20, v6
	v_mul_f32_e32 v16, 0.5, v41
	v_add_co_ci_u32_e64 v7, null, s21, v7, vcc_lo
	v_add_co_u32 v0, vcc_lo, s20, v0
	v_lshlrev_b64 v[12:13], 2, v[8:9]
	v_add_nc_u32_e32 v8, s17, v8
	s_waitcnt vmcnt(5)
	v_mul_f32_e32 v2, 0.5, v2
	v_add_co_ci_u32_e64 v1, null, s21, v1, vcc_lo
	global_store_dword v[10:11], v16, off
	global_store_dword v[6:7], v14, off
	;; [unrolled: 1-line block ×3, first 2 shown]
	v_lshlrev_b64 v[0:1], 2, v[8:9]
	v_add_nc_u32_e32 v8, s17, v8
	v_add_co_u32 v2, vcc_lo, s20, v12
	s_waitcnt vmcnt(4)
	v_mul_f32_e32 v10, 0.5, v3
	v_add_co_ci_u32_e64 v3, null, s21, v13, vcc_lo
	v_lshlrev_b64 v[6:7], 2, v[8:9]
	v_add_nc_u32_e32 v8, s17, v8
	v_add_co_u32 v0, vcc_lo, s20, v0
	s_waitcnt vmcnt(1)
	v_mul_f32_e32 v11, 0.5, v4
	v_add_co_ci_u32_e64 v1, null, s21, v1, vcc_lo
	s_waitcnt vmcnt(0)
	v_mul_f32_e32 v12, 0.5, v5
	v_lshlrev_b64 v[4:5], 2, v[8:9]
	v_add_nc_u32_e32 v8, s17, v8
	v_add_co_u32 v6, vcc_lo, s20, v6
	v_add_co_ci_u32_e64 v7, null, s21, v7, vcc_lo
	v_lshlrev_b64 v[8:9], 2, v[8:9]
	v_add_co_u32 v4, vcc_lo, s20, v4
	v_add_co_ci_u32_e64 v5, null, s21, v5, vcc_lo
	v_mul_f32_e32 v13, 0.5, v52
	v_add_co_u32 v8, vcc_lo, s20, v8
	v_mul_f32_e32 v14, 0.5, v53
	v_add_co_ci_u32_e64 v9, null, s21, v9, vcc_lo
	global_store_dword v[2:3], v10, off
	global_store_dword v[0:1], v11, off
	;; [unrolled: 1-line block ×5, first 2 shown]
.LBB7_36:
	s_endpgm
	.section	.rodata,"a",@progbits
	.p2align	6, 0x0
	.amdhsa_kernel _ZL11fasten_mainILm128EEviiPK4AtomS2_PKfS4_S4_S4_S4_S4_PfPK8FFParamsi
		.amdhsa_group_segment_fixed_size 0
		.amdhsa_private_segment_fixed_size 8208
		.amdhsa_kernarg_size 352
		.amdhsa_user_sgpr_count 6
		.amdhsa_user_sgpr_private_segment_buffer 1
		.amdhsa_user_sgpr_dispatch_ptr 0
		.amdhsa_user_sgpr_queue_ptr 0
		.amdhsa_user_sgpr_kernarg_segment_ptr 1
		.amdhsa_user_sgpr_dispatch_id 0
		.amdhsa_user_sgpr_flat_scratch_init 0
		.amdhsa_user_sgpr_private_segment_size 0
		.amdhsa_wavefront_size32 1
		.amdhsa_uses_dynamic_stack 0
		.amdhsa_system_sgpr_private_segment_wavefront_offset 1
		.amdhsa_system_sgpr_workgroup_id_x 1
		.amdhsa_system_sgpr_workgroup_id_y 0
		.amdhsa_system_sgpr_workgroup_id_z 0
		.amdhsa_system_sgpr_workgroup_info 0
		.amdhsa_system_vgpr_workitem_id 0
		.amdhsa_next_free_vgpr 65
		.amdhsa_next_free_sgpr 52
		.amdhsa_reserve_vcc 1
		.amdhsa_reserve_flat_scratch 0
		.amdhsa_float_round_mode_32 0
		.amdhsa_float_round_mode_16_64 0
		.amdhsa_float_denorm_mode_32 3
		.amdhsa_float_denorm_mode_16_64 3
		.amdhsa_dx10_clamp 1
		.amdhsa_ieee_mode 1
		.amdhsa_fp16_overflow 0
		.amdhsa_workgroup_processor_mode 1
		.amdhsa_memory_ordered 1
		.amdhsa_forward_progress 1
		.amdhsa_shared_vgpr_count 0
		.amdhsa_exception_fp_ieee_invalid_op 0
		.amdhsa_exception_fp_denorm_src 0
		.amdhsa_exception_fp_ieee_div_zero 0
		.amdhsa_exception_fp_ieee_overflow 0
		.amdhsa_exception_fp_ieee_underflow 0
		.amdhsa_exception_fp_ieee_inexact 0
		.amdhsa_exception_int_div_zero 0
	.end_amdhsa_kernel
	.section	.text._ZL11fasten_mainILm128EEviiPK4AtomS2_PKfS4_S4_S4_S4_S4_PfPK8FFParamsi,"axG",@progbits,_ZL11fasten_mainILm128EEviiPK4AtomS2_PKfS4_S4_S4_S4_S4_PfPK8FFParamsi,comdat
.Lfunc_end7:
	.size	_ZL11fasten_mainILm128EEviiPK4AtomS2_PKfS4_S4_S4_S4_S4_PfPK8FFParamsi, .Lfunc_end7-_ZL11fasten_mainILm128EEviiPK4AtomS2_PKfS4_S4_S4_S4_S4_PfPK8FFParamsi
                                        ; -- End function
	.set _ZL11fasten_mainILm128EEviiPK4AtomS2_PKfS4_S4_S4_S4_S4_PfPK8FFParamsi.num_vgpr, 65
	.set _ZL11fasten_mainILm128EEviiPK4AtomS2_PKfS4_S4_S4_S4_S4_PfPK8FFParamsi.num_agpr, 0
	.set _ZL11fasten_mainILm128EEviiPK4AtomS2_PKfS4_S4_S4_S4_S4_PfPK8FFParamsi.numbered_sgpr, 52
	.set _ZL11fasten_mainILm128EEviiPK4AtomS2_PKfS4_S4_S4_S4_S4_PfPK8FFParamsi.num_named_barrier, 0
	.set _ZL11fasten_mainILm128EEviiPK4AtomS2_PKfS4_S4_S4_S4_S4_PfPK8FFParamsi.private_seg_size, 8208
	.set _ZL11fasten_mainILm128EEviiPK4AtomS2_PKfS4_S4_S4_S4_S4_PfPK8FFParamsi.uses_vcc, 1
	.set _ZL11fasten_mainILm128EEviiPK4AtomS2_PKfS4_S4_S4_S4_S4_PfPK8FFParamsi.uses_flat_scratch, 0
	.set _ZL11fasten_mainILm128EEviiPK4AtomS2_PKfS4_S4_S4_S4_S4_PfPK8FFParamsi.has_dyn_sized_stack, 0
	.set _ZL11fasten_mainILm128EEviiPK4AtomS2_PKfS4_S4_S4_S4_S4_PfPK8FFParamsi.has_recursion, 0
	.set _ZL11fasten_mainILm128EEviiPK4AtomS2_PKfS4_S4_S4_S4_S4_PfPK8FFParamsi.has_indirect_call, 0
	.section	.AMDGPU.csdata,"",@progbits
; Kernel info:
; codeLenInByte = 14288
; TotalNumSgprs: 54
; NumVgprs: 65
; ScratchSize: 8208
; MemoryBound: 0
; FloatMode: 240
; IeeeMode: 1
; LDSByteSize: 0 bytes/workgroup (compile time only)
; SGPRBlocks: 0
; VGPRBlocks: 8
; NumSGPRsForWavesPerEU: 54
; NumVGPRsForWavesPerEU: 65
; Occupancy: 12
; WaveLimiterHint : 1
; COMPUTE_PGM_RSRC2:SCRATCH_EN: 1
; COMPUTE_PGM_RSRC2:USER_SGPR: 6
; COMPUTE_PGM_RSRC2:TRAP_HANDLER: 0
; COMPUTE_PGM_RSRC2:TGID_X_EN: 1
; COMPUTE_PGM_RSRC2:TGID_Y_EN: 0
; COMPUTE_PGM_RSRC2:TGID_Z_EN: 0
; COMPUTE_PGM_RSRC2:TIDIG_COMP_CNT: 0
	.section	.AMDGPU.gpr_maximums,"",@progbits
	.set amdgpu.max_num_vgpr, 0
	.set amdgpu.max_num_agpr, 0
	.set amdgpu.max_num_sgpr, 0
	.section	.AMDGPU.csdata,"",@progbits
	.type	__hip_cuid_969aef5136b2e8fe,@object ; @__hip_cuid_969aef5136b2e8fe
	.section	.bss,"aw",@nobits
	.globl	__hip_cuid_969aef5136b2e8fe
__hip_cuid_969aef5136b2e8fe:
	.byte	0                               ; 0x0
	.size	__hip_cuid_969aef5136b2e8fe, 1

	.ident	"AMD clang version 22.0.0git (https://github.com/RadeonOpenCompute/llvm-project roc-7.2.4 26084 f58b06dce1f9c15707c5f808fd002e18c2accf7e)"
	.section	".note.GNU-stack","",@progbits
	.addrsig
	.addrsig_sym __hip_cuid_969aef5136b2e8fe
	.amdgpu_metadata
---
amdhsa.kernels:
  - .args:
      - .offset:         0
        .size:           4
        .value_kind:     by_value
      - .offset:         4
        .size:           4
        .value_kind:     by_value
      - .address_space:  global
        .offset:         8
        .size:           8
        .value_kind:     global_buffer
      - .address_space:  global
        .offset:         16
        .size:           8
        .value_kind:     global_buffer
      - .address_space:  global
        .offset:         24
        .size:           8
        .value_kind:     global_buffer
      - .address_space:  global
        .offset:         32
        .size:           8
        .value_kind:     global_buffer
      - .address_space:  global
        .offset:         40
        .size:           8
        .value_kind:     global_buffer
      - .address_space:  global
        .offset:         48
        .size:           8
        .value_kind:     global_buffer
      - .address_space:  global
        .offset:         56
        .size:           8
        .value_kind:     global_buffer
      - .address_space:  global
        .offset:         64
        .size:           8
        .value_kind:     global_buffer
      - .address_space:  global
        .offset:         72
        .size:           8
        .value_kind:     global_buffer
      - .address_space:  global
        .offset:         80
        .size:           8
        .value_kind:     global_buffer
      - .offset:         88
        .size:           4
        .value_kind:     by_value
      - .offset:         96
        .size:           4
        .value_kind:     hidden_block_count_x
      - .offset:         100
        .size:           4
        .value_kind:     hidden_block_count_y
      - .offset:         104
        .size:           4
        .value_kind:     hidden_block_count_z
      - .offset:         108
        .size:           2
        .value_kind:     hidden_group_size_x
      - .offset:         110
        .size:           2
        .value_kind:     hidden_group_size_y
      - .offset:         112
        .size:           2
        .value_kind:     hidden_group_size_z
      - .offset:         114
        .size:           2
        .value_kind:     hidden_remainder_x
      - .offset:         116
        .size:           2
        .value_kind:     hidden_remainder_y
      - .offset:         118
        .size:           2
        .value_kind:     hidden_remainder_z
      - .offset:         136
        .size:           8
        .value_kind:     hidden_global_offset_x
      - .offset:         144
        .size:           8
        .value_kind:     hidden_global_offset_y
      - .offset:         152
        .size:           8
        .value_kind:     hidden_global_offset_z
      - .offset:         160
        .size:           2
        .value_kind:     hidden_grid_dims
    .group_segment_fixed_size: 0
    .kernarg_segment_align: 8
    .kernarg_segment_size: 352
    .language:       OpenCL C
    .language_version:
      - 2
      - 0
    .max_flat_workgroup_size: 1024
    .name:           _ZL11fasten_mainILm1EEviiPK4AtomS2_PKfS4_S4_S4_S4_S4_PfPK8FFParamsi
    .private_segment_fixed_size: 0
    .sgpr_count:     31
    .sgpr_spill_count: 0
    .symbol:         _ZL11fasten_mainILm1EEviiPK4AtomS2_PKfS4_S4_S4_S4_S4_PfPK8FFParamsi.kd
    .uniform_work_group_size: 1
    .uses_dynamic_stack: false
    .vgpr_count:     45
    .vgpr_spill_count: 0
    .wavefront_size: 32
    .workgroup_processor_mode: 1
  - .args:
      - .offset:         0
        .size:           4
        .value_kind:     by_value
      - .offset:         4
        .size:           4
        .value_kind:     by_value
      - .address_space:  global
        .offset:         8
        .size:           8
        .value_kind:     global_buffer
      - .address_space:  global
        .offset:         16
        .size:           8
        .value_kind:     global_buffer
      - .address_space:  global
        .offset:         24
        .size:           8
        .value_kind:     global_buffer
      - .address_space:  global
        .offset:         32
        .size:           8
        .value_kind:     global_buffer
      - .address_space:  global
        .offset:         40
        .size:           8
        .value_kind:     global_buffer
      - .address_space:  global
        .offset:         48
        .size:           8
        .value_kind:     global_buffer
      - .address_space:  global
        .offset:         56
        .size:           8
        .value_kind:     global_buffer
      - .address_space:  global
        .offset:         64
        .size:           8
        .value_kind:     global_buffer
      - .address_space:  global
        .offset:         72
        .size:           8
        .value_kind:     global_buffer
      - .address_space:  global
        .offset:         80
        .size:           8
        .value_kind:     global_buffer
      - .offset:         88
        .size:           4
        .value_kind:     by_value
      - .offset:         96
        .size:           4
        .value_kind:     hidden_block_count_x
      - .offset:         100
        .size:           4
        .value_kind:     hidden_block_count_y
      - .offset:         104
        .size:           4
        .value_kind:     hidden_block_count_z
      - .offset:         108
        .size:           2
        .value_kind:     hidden_group_size_x
      - .offset:         110
        .size:           2
        .value_kind:     hidden_group_size_y
      - .offset:         112
        .size:           2
        .value_kind:     hidden_group_size_z
      - .offset:         114
        .size:           2
        .value_kind:     hidden_remainder_x
      - .offset:         116
        .size:           2
        .value_kind:     hidden_remainder_y
      - .offset:         118
        .size:           2
        .value_kind:     hidden_remainder_z
      - .offset:         136
        .size:           8
        .value_kind:     hidden_global_offset_x
      - .offset:         144
        .size:           8
        .value_kind:     hidden_global_offset_y
      - .offset:         152
        .size:           8
        .value_kind:     hidden_global_offset_z
      - .offset:         160
        .size:           2
        .value_kind:     hidden_grid_dims
    .group_segment_fixed_size: 0
    .kernarg_segment_align: 8
    .kernarg_segment_size: 352
    .language:       OpenCL C
    .language_version:
      - 2
      - 0
    .max_flat_workgroup_size: 1024
    .name:           _ZL11fasten_mainILm2EEviiPK4AtomS2_PKfS4_S4_S4_S4_S4_PfPK8FFParamsi
    .private_segment_fixed_size: 112
    .sgpr_count:     38
    .sgpr_spill_count: 0
    .symbol:         _ZL11fasten_mainILm2EEviiPK4AtomS2_PKfS4_S4_S4_S4_S4_PfPK8FFParamsi.kd
    .uniform_work_group_size: 1
    .uses_dynamic_stack: false
    .vgpr_count:     63
    .vgpr_spill_count: 0
    .wavefront_size: 32
    .workgroup_processor_mode: 1
  - .args:
      - .offset:         0
        .size:           4
        .value_kind:     by_value
      - .offset:         4
        .size:           4
        .value_kind:     by_value
      - .address_space:  global
        .offset:         8
        .size:           8
        .value_kind:     global_buffer
      - .address_space:  global
        .offset:         16
        .size:           8
        .value_kind:     global_buffer
      - .address_space:  global
        .offset:         24
        .size:           8
        .value_kind:     global_buffer
      - .address_space:  global
        .offset:         32
        .size:           8
        .value_kind:     global_buffer
      - .address_space:  global
        .offset:         40
        .size:           8
        .value_kind:     global_buffer
      - .address_space:  global
        .offset:         48
        .size:           8
        .value_kind:     global_buffer
      - .address_space:  global
        .offset:         56
        .size:           8
        .value_kind:     global_buffer
      - .address_space:  global
        .offset:         64
        .size:           8
        .value_kind:     global_buffer
      - .address_space:  global
        .offset:         72
        .size:           8
        .value_kind:     global_buffer
      - .address_space:  global
        .offset:         80
        .size:           8
        .value_kind:     global_buffer
      - .offset:         88
        .size:           4
        .value_kind:     by_value
      - .offset:         96
        .size:           4
        .value_kind:     hidden_block_count_x
      - .offset:         100
        .size:           4
        .value_kind:     hidden_block_count_y
      - .offset:         104
        .size:           4
        .value_kind:     hidden_block_count_z
      - .offset:         108
        .size:           2
        .value_kind:     hidden_group_size_x
      - .offset:         110
        .size:           2
        .value_kind:     hidden_group_size_y
      - .offset:         112
        .size:           2
        .value_kind:     hidden_group_size_z
      - .offset:         114
        .size:           2
        .value_kind:     hidden_remainder_x
      - .offset:         116
        .size:           2
        .value_kind:     hidden_remainder_y
      - .offset:         118
        .size:           2
        .value_kind:     hidden_remainder_z
      - .offset:         136
        .size:           8
        .value_kind:     hidden_global_offset_x
      - .offset:         144
        .size:           8
        .value_kind:     hidden_global_offset_y
      - .offset:         152
        .size:           8
        .value_kind:     hidden_global_offset_z
      - .offset:         160
        .size:           2
        .value_kind:     hidden_grid_dims
    .group_segment_fixed_size: 0
    .kernarg_segment_align: 8
    .kernarg_segment_size: 352
    .language:       OpenCL C
    .language_version:
      - 2
      - 0
    .max_flat_workgroup_size: 1024
    .name:           _ZL11fasten_mainILm4EEviiPK4AtomS2_PKfS4_S4_S4_S4_S4_PfPK8FFParamsi
    .private_segment_fixed_size: 224
    .sgpr_count:     54
    .sgpr_spill_count: 0
    .symbol:         _ZL11fasten_mainILm4EEviiPK4AtomS2_PKfS4_S4_S4_S4_S4_PfPK8FFParamsi.kd
    .uniform_work_group_size: 1
    .uses_dynamic_stack: false
    .vgpr_count:     106
    .vgpr_spill_count: 0
    .wavefront_size: 32
    .workgroup_processor_mode: 1
  - .args:
      - .offset:         0
        .size:           4
        .value_kind:     by_value
      - .offset:         4
        .size:           4
        .value_kind:     by_value
      - .address_space:  global
        .offset:         8
        .size:           8
        .value_kind:     global_buffer
      - .address_space:  global
        .offset:         16
        .size:           8
        .value_kind:     global_buffer
      - .address_space:  global
        .offset:         24
        .size:           8
        .value_kind:     global_buffer
      - .address_space:  global
        .offset:         32
        .size:           8
        .value_kind:     global_buffer
      - .address_space:  global
        .offset:         40
        .size:           8
        .value_kind:     global_buffer
      - .address_space:  global
        .offset:         48
        .size:           8
        .value_kind:     global_buffer
      - .address_space:  global
        .offset:         56
        .size:           8
        .value_kind:     global_buffer
      - .address_space:  global
        .offset:         64
        .size:           8
        .value_kind:     global_buffer
      - .address_space:  global
        .offset:         72
        .size:           8
        .value_kind:     global_buffer
      - .address_space:  global
        .offset:         80
        .size:           8
        .value_kind:     global_buffer
      - .offset:         88
        .size:           4
        .value_kind:     by_value
      - .offset:         96
        .size:           4
        .value_kind:     hidden_block_count_x
      - .offset:         100
        .size:           4
        .value_kind:     hidden_block_count_y
      - .offset:         104
        .size:           4
        .value_kind:     hidden_block_count_z
      - .offset:         108
        .size:           2
        .value_kind:     hidden_group_size_x
      - .offset:         110
        .size:           2
        .value_kind:     hidden_group_size_y
      - .offset:         112
        .size:           2
        .value_kind:     hidden_group_size_z
      - .offset:         114
        .size:           2
        .value_kind:     hidden_remainder_x
      - .offset:         116
        .size:           2
        .value_kind:     hidden_remainder_y
      - .offset:         118
        .size:           2
        .value_kind:     hidden_remainder_z
      - .offset:         136
        .size:           8
        .value_kind:     hidden_global_offset_x
      - .offset:         144
        .size:           8
        .value_kind:     hidden_global_offset_y
      - .offset:         152
        .size:           8
        .value_kind:     hidden_global_offset_z
      - .offset:         160
        .size:           2
        .value_kind:     hidden_grid_dims
    .group_segment_fixed_size: 0
    .kernarg_segment_align: 8
    .kernarg_segment_size: 352
    .language:       OpenCL C
    .language_version:
      - 2
      - 0
    .max_flat_workgroup_size: 1024
    .name:           _ZL11fasten_mainILm8EEviiPK4AtomS2_PKfS4_S4_S4_S4_S4_PfPK8FFParamsi
    .private_segment_fixed_size: 512
    .sgpr_count:     37
    .sgpr_spill_count: 0
    .symbol:         _ZL11fasten_mainILm8EEviiPK4AtomS2_PKfS4_S4_S4_S4_S4_PfPK8FFParamsi.kd
    .uniform_work_group_size: 1
    .uses_dynamic_stack: false
    .vgpr_count:     128
    .vgpr_spill_count: 22
    .wavefront_size: 32
    .workgroup_processor_mode: 1
  - .args:
      - .offset:         0
        .size:           4
        .value_kind:     by_value
      - .offset:         4
        .size:           4
        .value_kind:     by_value
      - .address_space:  global
        .offset:         8
        .size:           8
        .value_kind:     global_buffer
      - .address_space:  global
        .offset:         16
        .size:           8
        .value_kind:     global_buffer
      - .address_space:  global
        .offset:         24
        .size:           8
        .value_kind:     global_buffer
      - .address_space:  global
        .offset:         32
        .size:           8
        .value_kind:     global_buffer
      - .address_space:  global
        .offset:         40
        .size:           8
        .value_kind:     global_buffer
      - .address_space:  global
        .offset:         48
        .size:           8
        .value_kind:     global_buffer
      - .address_space:  global
        .offset:         56
        .size:           8
        .value_kind:     global_buffer
      - .address_space:  global
        .offset:         64
        .size:           8
        .value_kind:     global_buffer
      - .address_space:  global
        .offset:         72
        .size:           8
        .value_kind:     global_buffer
      - .address_space:  global
        .offset:         80
        .size:           8
        .value_kind:     global_buffer
      - .offset:         88
        .size:           4
        .value_kind:     by_value
      - .offset:         96
        .size:           4
        .value_kind:     hidden_block_count_x
      - .offset:         100
        .size:           4
        .value_kind:     hidden_block_count_y
      - .offset:         104
        .size:           4
        .value_kind:     hidden_block_count_z
      - .offset:         108
        .size:           2
        .value_kind:     hidden_group_size_x
      - .offset:         110
        .size:           2
        .value_kind:     hidden_group_size_y
      - .offset:         112
        .size:           2
        .value_kind:     hidden_group_size_z
      - .offset:         114
        .size:           2
        .value_kind:     hidden_remainder_x
      - .offset:         116
        .size:           2
        .value_kind:     hidden_remainder_y
      - .offset:         118
        .size:           2
        .value_kind:     hidden_remainder_z
      - .offset:         136
        .size:           8
        .value_kind:     hidden_global_offset_x
      - .offset:         144
        .size:           8
        .value_kind:     hidden_global_offset_y
      - .offset:         152
        .size:           8
        .value_kind:     hidden_global_offset_z
      - .offset:         160
        .size:           2
        .value_kind:     hidden_grid_dims
    .group_segment_fixed_size: 0
    .kernarg_segment_align: 8
    .kernarg_segment_size: 352
    .language:       OpenCL C
    .language_version:
      - 2
      - 0
    .max_flat_workgroup_size: 1024
    .name:           _ZL11fasten_mainILm16EEviiPK4AtomS2_PKfS4_S4_S4_S4_S4_PfPK8FFParamsi
    .private_segment_fixed_size: 1440
    .sgpr_count:     37
    .sgpr_spill_count: 0
    .symbol:         _ZL11fasten_mainILm16EEviiPK4AtomS2_PKfS4_S4_S4_S4_S4_PfPK8FFParamsi.kd
    .uniform_work_group_size: 1
    .uses_dynamic_stack: false
    .vgpr_count:     128
    .vgpr_spill_count: 150
    .wavefront_size: 32
    .workgroup_processor_mode: 1
  - .args:
      - .offset:         0
        .size:           4
        .value_kind:     by_value
      - .offset:         4
        .size:           4
        .value_kind:     by_value
      - .address_space:  global
        .offset:         8
        .size:           8
        .value_kind:     global_buffer
      - .address_space:  global
        .offset:         16
        .size:           8
        .value_kind:     global_buffer
      - .address_space:  global
        .offset:         24
        .size:           8
        .value_kind:     global_buffer
      - .address_space:  global
        .offset:         32
        .size:           8
        .value_kind:     global_buffer
      - .address_space:  global
        .offset:         40
        .size:           8
        .value_kind:     global_buffer
      - .address_space:  global
        .offset:         48
        .size:           8
        .value_kind:     global_buffer
      - .address_space:  global
        .offset:         56
        .size:           8
        .value_kind:     global_buffer
      - .address_space:  global
        .offset:         64
        .size:           8
        .value_kind:     global_buffer
      - .address_space:  global
        .offset:         72
        .size:           8
        .value_kind:     global_buffer
      - .address_space:  global
        .offset:         80
        .size:           8
        .value_kind:     global_buffer
      - .offset:         88
        .size:           4
        .value_kind:     by_value
      - .offset:         96
        .size:           4
        .value_kind:     hidden_block_count_x
      - .offset:         100
        .size:           4
        .value_kind:     hidden_block_count_y
      - .offset:         104
        .size:           4
        .value_kind:     hidden_block_count_z
      - .offset:         108
        .size:           2
        .value_kind:     hidden_group_size_x
      - .offset:         110
        .size:           2
        .value_kind:     hidden_group_size_y
      - .offset:         112
        .size:           2
        .value_kind:     hidden_group_size_z
      - .offset:         114
        .size:           2
        .value_kind:     hidden_remainder_x
      - .offset:         116
        .size:           2
        .value_kind:     hidden_remainder_y
      - .offset:         118
        .size:           2
        .value_kind:     hidden_remainder_z
      - .offset:         136
        .size:           8
        .value_kind:     hidden_global_offset_x
      - .offset:         144
        .size:           8
        .value_kind:     hidden_global_offset_y
      - .offset:         152
        .size:           8
        .value_kind:     hidden_global_offset_z
      - .offset:         160
        .size:           2
        .value_kind:     hidden_grid_dims
    .group_segment_fixed_size: 0
    .kernarg_segment_align: 8
    .kernarg_segment_size: 352
    .language:       OpenCL C
    .language_version:
      - 2
      - 0
    .max_flat_workgroup_size: 1024
    .name:           _ZL11fasten_mainILm32EEviiPK4AtomS2_PKfS4_S4_S4_S4_S4_PfPK8FFParamsi
    .private_segment_fixed_size: 2960
    .sgpr_count:     37
    .sgpr_spill_count: 0
    .symbol:         _ZL11fasten_mainILm32EEviiPK4AtomS2_PKfS4_S4_S4_S4_S4_PfPK8FFParamsi.kd
    .uniform_work_group_size: 1
    .uses_dynamic_stack: false
    .vgpr_count:     128
    .vgpr_spill_count: 321
    .wavefront_size: 32
    .workgroup_processor_mode: 1
  - .args:
      - .offset:         0
        .size:           4
        .value_kind:     by_value
      - .offset:         4
        .size:           4
        .value_kind:     by_value
      - .address_space:  global
        .offset:         8
        .size:           8
        .value_kind:     global_buffer
      - .address_space:  global
        .offset:         16
        .size:           8
        .value_kind:     global_buffer
      - .address_space:  global
        .offset:         24
        .size:           8
        .value_kind:     global_buffer
      - .address_space:  global
        .offset:         32
        .size:           8
        .value_kind:     global_buffer
      - .address_space:  global
        .offset:         40
        .size:           8
        .value_kind:     global_buffer
      - .address_space:  global
        .offset:         48
        .size:           8
        .value_kind:     global_buffer
      - .address_space:  global
        .offset:         56
        .size:           8
        .value_kind:     global_buffer
      - .address_space:  global
        .offset:         64
        .size:           8
        .value_kind:     global_buffer
      - .address_space:  global
        .offset:         72
        .size:           8
        .value_kind:     global_buffer
      - .address_space:  global
        .offset:         80
        .size:           8
        .value_kind:     global_buffer
      - .offset:         88
        .size:           4
        .value_kind:     by_value
      - .offset:         96
        .size:           4
        .value_kind:     hidden_block_count_x
      - .offset:         100
        .size:           4
        .value_kind:     hidden_block_count_y
      - .offset:         104
        .size:           4
        .value_kind:     hidden_block_count_z
      - .offset:         108
        .size:           2
        .value_kind:     hidden_group_size_x
      - .offset:         110
        .size:           2
        .value_kind:     hidden_group_size_y
      - .offset:         112
        .size:           2
        .value_kind:     hidden_group_size_z
      - .offset:         114
        .size:           2
        .value_kind:     hidden_remainder_x
      - .offset:         116
        .size:           2
        .value_kind:     hidden_remainder_y
      - .offset:         118
        .size:           2
        .value_kind:     hidden_remainder_z
      - .offset:         136
        .size:           8
        .value_kind:     hidden_global_offset_x
      - .offset:         144
        .size:           8
        .value_kind:     hidden_global_offset_y
      - .offset:         152
        .size:           8
        .value_kind:     hidden_global_offset_z
      - .offset:         160
        .size:           2
        .value_kind:     hidden_grid_dims
    .group_segment_fixed_size: 0
    .kernarg_segment_align: 8
    .kernarg_segment_size: 352
    .language:       OpenCL C
    .language_version:
      - 2
      - 0
    .max_flat_workgroup_size: 1024
    .name:           _ZL11fasten_mainILm64EEviiPK4AtomS2_PKfS4_S4_S4_S4_S4_PfPK8FFParamsi
    .private_segment_fixed_size: 5152
    .sgpr_count:     37
    .sgpr_spill_count: 0
    .symbol:         _ZL11fasten_mainILm64EEviiPK4AtomS2_PKfS4_S4_S4_S4_S4_PfPK8FFParamsi.kd
    .uniform_work_group_size: 1
    .uses_dynamic_stack: false
    .vgpr_count:     128
    .vgpr_spill_count: 474
    .wavefront_size: 32
    .workgroup_processor_mode: 1
  - .args:
      - .offset:         0
        .size:           4
        .value_kind:     by_value
      - .offset:         4
        .size:           4
        .value_kind:     by_value
      - .address_space:  global
        .offset:         8
        .size:           8
        .value_kind:     global_buffer
      - .address_space:  global
        .offset:         16
        .size:           8
        .value_kind:     global_buffer
      - .address_space:  global
        .offset:         24
        .size:           8
        .value_kind:     global_buffer
      - .address_space:  global
        .offset:         32
        .size:           8
        .value_kind:     global_buffer
      - .address_space:  global
        .offset:         40
        .size:           8
        .value_kind:     global_buffer
      - .address_space:  global
        .offset:         48
        .size:           8
        .value_kind:     global_buffer
      - .address_space:  global
        .offset:         56
        .size:           8
        .value_kind:     global_buffer
      - .address_space:  global
        .offset:         64
        .size:           8
        .value_kind:     global_buffer
      - .address_space:  global
        .offset:         72
        .size:           8
        .value_kind:     global_buffer
      - .address_space:  global
        .offset:         80
        .size:           8
        .value_kind:     global_buffer
      - .offset:         88
        .size:           4
        .value_kind:     by_value
      - .offset:         96
        .size:           4
        .value_kind:     hidden_block_count_x
      - .offset:         100
        .size:           4
        .value_kind:     hidden_block_count_y
      - .offset:         104
        .size:           4
        .value_kind:     hidden_block_count_z
      - .offset:         108
        .size:           2
        .value_kind:     hidden_group_size_x
      - .offset:         110
        .size:           2
        .value_kind:     hidden_group_size_y
      - .offset:         112
        .size:           2
        .value_kind:     hidden_group_size_z
      - .offset:         114
        .size:           2
        .value_kind:     hidden_remainder_x
      - .offset:         116
        .size:           2
        .value_kind:     hidden_remainder_y
      - .offset:         118
        .size:           2
        .value_kind:     hidden_remainder_z
      - .offset:         136
        .size:           8
        .value_kind:     hidden_global_offset_x
      - .offset:         144
        .size:           8
        .value_kind:     hidden_global_offset_y
      - .offset:         152
        .size:           8
        .value_kind:     hidden_global_offset_z
      - .offset:         160
        .size:           2
        .value_kind:     hidden_grid_dims
    .group_segment_fixed_size: 0
    .kernarg_segment_align: 8
    .kernarg_segment_size: 352
    .language:       OpenCL C
    .language_version:
      - 2
      - 0
    .max_flat_workgroup_size: 1024
    .name:           _ZL11fasten_mainILm128EEviiPK4AtomS2_PKfS4_S4_S4_S4_S4_PfPK8FFParamsi
    .private_segment_fixed_size: 8208
    .sgpr_count:     54
    .sgpr_spill_count: 0
    .symbol:         _ZL11fasten_mainILm128EEviiPK4AtomS2_PKfS4_S4_S4_S4_S4_PfPK8FFParamsi.kd
    .uniform_work_group_size: 1
    .uses_dynamic_stack: false
    .vgpr_count:     65
    .vgpr_spill_count: 0
    .wavefront_size: 32
    .workgroup_processor_mode: 1
amdhsa.target:   amdgcn-amd-amdhsa--gfx1030
amdhsa.version:
  - 1
  - 2
...

	.end_amdgpu_metadata
